;; amdgpu-corpus repo=ROCm/rocFFT kind=compiled arch=gfx906 opt=O3
	.text
	.amdgcn_target "amdgcn-amd-amdhsa--gfx906"
	.amdhsa_code_object_version 6
	.protected	bluestein_single_fwd_len704_dim1_half_op_CI_CI ; -- Begin function bluestein_single_fwd_len704_dim1_half_op_CI_CI
	.globl	bluestein_single_fwd_len704_dim1_half_op_CI_CI
	.p2align	8
	.type	bluestein_single_fwd_len704_dim1_half_op_CI_CI,@function
bluestein_single_fwd_len704_dim1_half_op_CI_CI: ; @bluestein_single_fwd_len704_dim1_half_op_CI_CI
; %bb.0:
	s_load_dwordx4 s[16:19], s[4:5], 0x28
	v_mul_u32_u24_e32 v1, 0x2e9, v0
	v_lshrrev_b32_e32 v1, 16, v1
	v_lshl_add_u32 v8, s6, 1, v1
	v_mov_b32_e32 v9, 0
	s_waitcnt lgkmcnt(0)
	v_cmp_gt_u64_e32 vcc, s[16:17], v[8:9]
	s_and_saveexec_b64 s[0:1], vcc
	s_cbranch_execz .LBB0_10
; %bb.1:
	s_load_dwordx4 s[8:11], s[4:5], 0x18
	s_load_dwordx4 s[0:3], s[4:5], 0x0
	v_mul_lo_u16_e32 v2, 0x58, v1
	v_sub_u16_e32 v30, v0, v2
	v_lshlrev_b32_e32 v34, 2, v30
	s_waitcnt lgkmcnt(0)
	s_load_dwordx4 s[12:15], s[8:9], 0x0
	global_load_dword v31, v34, s[0:1]
	s_load_dwordx2 s[4:5], s[4:5], 0x38
                                        ; implicit-def: $vgpr73
                                        ; implicit-def: $vgpr74
                                        ; implicit-def: $vgpr65
                                        ; implicit-def: $vgpr75
	s_waitcnt lgkmcnt(0)
	v_mad_u64_u32 v[2:3], s[6:7], s14, v8, 0
	v_mad_u64_u32 v[4:5], s[6:7], s12, v30, 0
	v_mov_b32_e32 v0, v3
	s_mul_hi_u32 s9, s12, 0xfffffbe0
	v_mov_b32_e32 v3, v5
	v_mad_u64_u32 v[5:6], s[6:7], s15, v8, v[0:1]
	v_mad_u64_u32 v[6:7], s[6:7], s13, v30, v[3:4]
	v_mov_b32_e32 v3, v5
	v_lshlrev_b64 v[2:3], 2, v[2:3]
	v_mov_b32_e32 v0, s19
	v_mov_b32_e32 v5, v6
	v_add_co_u32_e32 v6, vcc, s18, v2
	v_addc_co_u32_e32 v0, vcc, v0, v3, vcc
	v_lshlrev_b64 v[2:3], 2, v[4:5]
	s_mul_i32 s6, s13, 0x580
	v_add_co_u32_e32 v2, vcc, v6, v2
	s_mul_hi_u32 s7, s12, 0x580
	v_addc_co_u32_e32 v3, vcc, v0, v3, vcc
	s_add_i32 s6, s7, s6
	s_mul_i32 s7, s12, 0x580
	v_mov_b32_e32 v0, s6
	v_add_co_u32_e32 v4, vcc, s7, v2
	v_addc_co_u32_e32 v5, vcc, v3, v0, vcc
	global_load_dword v0, v[2:3], off
	global_load_dword v6, v[4:5], off
	global_load_dword v29, v34, s[0:1] offset:1408
	s_mul_i32 s8, s13, 0xfffffbe0
	s_sub_i32 s9, s9, s12
	s_add_i32 s8, s9, s8
	s_mul_i32 s9, s12, 0xfffffbe0
	v_mov_b32_e32 v3, s8
	v_add_co_u32_e32 v2, vcc, s9, v4
	v_addc_co_u32_e32 v3, vcc, v5, v3, vcc
	global_load_dword v4, v[2:3], off
	global_load_dword v28, v34, s[0:1] offset:352
	v_mov_b32_e32 v5, s6
	v_add_co_u32_e32 v2, vcc, s7, v2
	v_addc_co_u32_e32 v3, vcc, v3, v5, vcc
	global_load_dword v7, v[2:3], off
	global_load_dword v27, v34, s[0:1] offset:1760
	v_mov_b32_e32 v5, s8
	v_add_co_u32_e32 v2, vcc, s9, v2
	v_addc_co_u32_e32 v3, vcc, v3, v5, vcc
	global_load_dword v5, v[2:3], off
	global_load_dword v26, v34, s[0:1] offset:704
	v_mov_b32_e32 v9, s6
	v_add_co_u32_e32 v2, vcc, s7, v2
	v_addc_co_u32_e32 v3, vcc, v3, v9, vcc
	global_load_dword v9, v[2:3], off
	global_load_dword v25, v34, s[0:1] offset:2112
	v_mov_b32_e32 v10, s8
	v_add_co_u32_e32 v2, vcc, s9, v2
	v_addc_co_u32_e32 v3, vcc, v3, v10, vcc
	global_load_dword v10, v[2:3], off
	global_load_dword v23, v34, s[0:1] offset:2464
	global_load_dword v24, v34, s[0:1] offset:1056
	v_mov_b32_e32 v11, s6
	v_add_co_u32_e32 v2, vcc, s7, v2
	v_addc_co_u32_e32 v3, vcc, v3, v11, vcc
	global_load_dword v2, v[2:3], off
	v_and_b32_e32 v1, 1, v1
	v_mov_b32_e32 v3, 0x2c0
	v_cmp_eq_u32_e32 vcc, 1, v1
	v_cndmask_b32_e32 v51, 0, v3, vcc
	v_lshlrev_b32_e32 v33, 2, v51
	v_add_u32_e32 v32, v33, v34
	v_add_u32_e32 v13, 0x200, v32
	s_load_dwordx4 s[8:11], s[10:11], 0x0
	v_add_u32_e32 v14, 0x400, v32
	v_add_u32_e32 v15, 0x800, v32
	v_lshl_add_u32 v37, v30, 3, v33
	s_movk_i32 s6, 0xfc
	s_movk_i32 s7, 0x1f0
	s_waitcnt vmcnt(14)
	v_lshrrev_b32_e32 v1, 16, v0
	v_mul_f16_sdwa v3, v31, v0 dst_sel:DWORD dst_unused:UNUSED_PAD src0_sel:WORD_1 src1_sel:DWORD
	v_fma_f16 v3, v31, v1, -v3
	v_mul_f16_sdwa v1, v31, v1 dst_sel:DWORD dst_unused:UNUSED_PAD src0_sel:WORD_1 src1_sel:DWORD
	s_waitcnt vmcnt(13)
	v_lshrrev_b32_e32 v11, 16, v6
	s_waitcnt vmcnt(12)
	v_mul_f16_sdwa v12, v29, v6 dst_sel:DWORD dst_unused:UNUSED_PAD src0_sel:WORD_1 src1_sel:DWORD
	v_fma_f16 v0, v31, v0, v1
	v_fma_f16 v1, v29, v11, -v12
	v_mul_f16_sdwa v11, v29, v11 dst_sel:DWORD dst_unused:UNUSED_PAD src0_sel:WORD_1 src1_sel:DWORD
	v_pack_b32_f16 v0, v0, v3
	v_fma_f16 v3, v29, v6, v11
	s_waitcnt vmcnt(11)
	v_lshrrev_b32_e32 v12, 16, v4
	v_pack_b32_f16 v1, v3, v1
	ds_write_b32 v32, v1 offset:1408
	s_waitcnt vmcnt(10)
	v_mul_f16_sdwa v1, v28, v12 dst_sel:DWORD dst_unused:UNUSED_PAD src0_sel:WORD_1 src1_sel:DWORD
	v_mul_f16_sdwa v3, v28, v4 dst_sel:DWORD dst_unused:UNUSED_PAD src0_sel:WORD_1 src1_sel:DWORD
	v_fma_f16 v1, v28, v4, v1
	v_fma_f16 v3, v28, v12, -v3
	v_pack_b32_f16 v1, v1, v3
	ds_write2_b32 v32, v0, v1 offset1:88
	s_waitcnt vmcnt(9)
	v_lshrrev_b32_e32 v0, 16, v7
	s_waitcnt vmcnt(8)
	v_mul_f16_sdwa v1, v27, v0 dst_sel:DWORD dst_unused:UNUSED_PAD src0_sel:WORD_1 src1_sel:DWORD
	v_mul_f16_sdwa v3, v27, v7 dst_sel:DWORD dst_unused:UNUSED_PAD src0_sel:WORD_1 src1_sel:DWORD
	v_fma_f16 v1, v27, v7, v1
	v_fma_f16 v0, v27, v0, -v3
	v_pack_b32_f16 v0, v1, v0
	s_waitcnt vmcnt(7)
	v_lshrrev_b32_e32 v1, 16, v5
	s_waitcnt vmcnt(6)
	v_mul_f16_sdwa v3, v26, v1 dst_sel:DWORD dst_unused:UNUSED_PAD src0_sel:WORD_1 src1_sel:DWORD
	v_mul_f16_sdwa v4, v26, v5 dst_sel:DWORD dst_unused:UNUSED_PAD src0_sel:WORD_1 src1_sel:DWORD
	v_fma_f16 v3, v26, v5, v3
	v_fma_f16 v1, v26, v1, -v4
	v_pack_b32_f16 v1, v3, v1
	;; [unrolled: 8-line block ×3, first 2 shown]
	v_add_u32_e32 v4, 0x600, v32
	ds_write2_b32 v4, v0, v3 offset0:56 offset1:144
	s_waitcnt vmcnt(3)
	v_lshrrev_b32_e32 v0, 16, v10
	s_waitcnt vmcnt(1)
	v_mul_f16_sdwa v3, v24, v0 dst_sel:DWORD dst_unused:UNUSED_PAD src0_sel:WORD_1 src1_sel:DWORD
	v_mul_f16_sdwa v4, v24, v10 dst_sel:DWORD dst_unused:UNUSED_PAD src0_sel:WORD_1 src1_sel:DWORD
	v_fma_f16 v3, v24, v10, v3
	v_fma_f16 v0, v24, v0, -v4
	v_pack_b32_f16 v0, v3, v0
	ds_write2_b32 v13, v1, v0 offset0:48 offset1:136
	s_waitcnt vmcnt(0)
	v_lshrrev_b32_e32 v0, 16, v2
	v_mul_f16_sdwa v1, v23, v0 dst_sel:DWORD dst_unused:UNUSED_PAD src0_sel:WORD_1 src1_sel:DWORD
	v_fma_f16 v1, v23, v2, v1
	v_mul_f16_sdwa v2, v23, v2 dst_sel:DWORD dst_unused:UNUSED_PAD src0_sel:WORD_1 src1_sel:DWORD
	v_fma_f16 v0, v23, v0, -v2
	v_pack_b32_f16 v0, v1, v0
	ds_write_b32 v32, v0 offset:2464
	s_waitcnt lgkmcnt(0)
	s_barrier
	ds_read2_b32 v[0:1], v32 offset1:88
	ds_read2_b32 v[2:3], v14 offset0:96 offset1:184
	ds_read2_b32 v[4:5], v13 offset0:48 offset1:136
	;; [unrolled: 1-line block ×3, first 2 shown]
	s_waitcnt lgkmcnt(0)
	s_barrier
	v_pk_add_f16 v10, v0, v2 neg_lo:[0,1] neg_hi:[0,1]
	v_pk_fma_f16 v9, v0, 2.0, v10 op_sel_hi:[1,0,1] neg_lo:[0,0,1] neg_hi:[0,0,1]
	ds_write_b64 v37, v[9:10]
	v_lshlrev_b32_e32 v9, 1, v30
	v_pk_add_f16 v2, v1, v3 neg_lo:[0,1] neg_hi:[0,1]
	v_pk_add_f16 v12, v4, v6 neg_lo:[0,1] neg_hi:[0,1]
	v_add_u32_e32 v10, 0xb0, v9
	v_add_u32_e32 v19, 0x160, v9
	v_pk_fma_f16 v1, v1, 2.0, v2 op_sel_hi:[1,0,1] neg_lo:[0,0,1] neg_hi:[0,0,1]
	v_pk_fma_f16 v11, v4, 2.0, v12 op_sel_hi:[1,0,1] neg_lo:[0,0,1] neg_hi:[0,0,1]
	v_lshl_add_u32 v38, v10, 2, v33
	v_lshl_add_u32 v39, v19, 2, v33
	v_pk_add_f16 v4, v5, v7 neg_lo:[0,1] neg_hi:[0,1]
	ds_write_b64 v38, v[1:2]
	ds_write_b64 v39, v[11:12]
	v_add_u32_e32 v21, 0x210, v9
	v_and_b32_e32 v11, 1, v30
	v_pk_fma_f16 v3, v5, 2.0, v4 op_sel_hi:[1,0,1] neg_lo:[0,0,1] neg_hi:[0,0,1]
	v_lshl_add_u32 v40, v21, 2, v33
	v_lshlrev_b32_e32 v0, 2, v11
	ds_write_b64 v40, v[3:4]
	s_waitcnt lgkmcnt(0)
	s_barrier
	global_load_dword v36, v0, s[2:3]
	ds_read2_b32 v[0:1], v14 offset0:96 offset1:184
	ds_read2_b32 v[2:3], v32 offset1:88
	ds_read2_b32 v[4:5], v13 offset0:48 offset1:136
	ds_read2_b32 v[6:7], v15 offset0:16 offset1:104
	s_waitcnt lgkmcnt(0)
	v_lshrrev_b32_e32 v12, 16, v0
	v_lshrrev_b32_e32 v16, 16, v2
	s_waitcnt vmcnt(0)
	s_barrier
	v_mul_f16_sdwa v17, v0, v36 dst_sel:DWORD dst_unused:UNUSED_PAD src0_sel:DWORD src1_sel:WORD_1
	v_mul_f16_sdwa v18, v12, v36 dst_sel:DWORD dst_unused:UNUSED_PAD src0_sel:DWORD src1_sel:WORD_1
	v_fma_f16 v12, v12, v36, v17
	v_fma_f16 v0, v0, v36, -v18
	v_sub_f16_e32 v0, v2, v0
	v_sub_f16_e32 v12, v16, v12
	v_fma_f16 v16, v16, 2.0, -v12
	v_pack_b32_f16 v12, v0, v12
	v_fma_f16 v0, v2, 2.0, -v0
	v_and_or_b32 v2, v9, s6, v11
	v_pack_b32_f16 v0, v0, v16
	v_lshl_add_u32 v41, v2, 2, v33
	ds_write2_b32 v41, v0, v12 offset1:2
	v_lshrrev_b32_e32 v0, 16, v1
	v_mul_f16_sdwa v2, v0, v36 dst_sel:DWORD dst_unused:UNUSED_PAD src0_sel:DWORD src1_sel:WORD_1
	v_fma_f16 v2, v1, v36, -v2
	v_mul_f16_sdwa v1, v1, v36 dst_sel:DWORD dst_unused:UNUSED_PAD src0_sel:DWORD src1_sel:WORD_1
	v_fma_f16 v0, v0, v36, v1
	v_sub_f16_e32 v1, v3, v2
	v_lshrrev_b32_e32 v2, 16, v3
	v_sub_f16_e32 v0, v2, v0
	s_movk_i32 s6, 0x1fc
	v_fma_f16 v3, v3, 2.0, -v1
	v_fma_f16 v2, v2, 2.0, -v0
	v_pack_b32_f16 v0, v1, v0
	v_and_or_b32 v1, v10, s6, v11
	v_pack_b32_f16 v2, v3, v2
	v_lshl_add_u32 v42, v1, 2, v33
	ds_write2_b32 v42, v2, v0 offset1:2
	v_lshrrev_b32_e32 v0, 16, v6
	v_mul_f16_sdwa v1, v6, v36 dst_sel:DWORD dst_unused:UNUSED_PAD src0_sel:DWORD src1_sel:WORD_1
	v_fma_f16 v1, v0, v36, v1
	v_mul_f16_sdwa v0, v0, v36 dst_sel:DWORD dst_unused:UNUSED_PAD src0_sel:DWORD src1_sel:WORD_1
	v_fma_f16 v0, v6, v36, -v0
	v_lshrrev_b32_e32 v2, 16, v4
	v_sub_f16_e32 v0, v4, v0
	v_sub_f16_e32 v1, v2, v1
	s_movk_i32 s6, 0x3fc
	v_fma_f16 v2, v2, 2.0, -v1
	v_fma_f16 v3, v4, 2.0, -v0
	v_pack_b32_f16 v0, v0, v1
	v_and_or_b32 v1, v19, s6, v11
	v_pack_b32_f16 v2, v3, v2
	v_lshl_add_u32 v44, v1, 2, v33
	ds_write2_b32 v44, v2, v0 offset1:2
	v_lshrrev_b32_e32 v0, 16, v7
	v_mul_f16_sdwa v1, v0, v36 dst_sel:DWORD dst_unused:UNUSED_PAD src0_sel:DWORD src1_sel:WORD_1
	v_mul_f16_sdwa v2, v7, v36 dst_sel:DWORD dst_unused:UNUSED_PAD src0_sel:DWORD src1_sel:WORD_1
	v_fma_f16 v1, v7, v36, -v1
	v_fma_f16 v0, v0, v36, v2
	v_lshrrev_b32_e32 v2, 16, v5
	v_sub_f16_e32 v1, v5, v1
	v_sub_f16_e32 v0, v2, v0
	v_fma_f16 v3, v5, 2.0, -v1
	v_fma_f16 v2, v2, 2.0, -v0
	v_pack_b32_f16 v0, v1, v0
	v_and_or_b32 v1, v21, s6, v11
	v_pack_b32_f16 v2, v3, v2
	v_lshl_add_u32 v45, v1, 2, v33
	v_and_b32_e32 v11, 3, v30
	ds_write2_b32 v45, v2, v0 offset1:2
	v_lshlrev_b32_e32 v0, 2, v11
	s_waitcnt lgkmcnt(0)
	s_barrier
	global_load_dword v43, v0, s[2:3] offset:8
	s_movk_i32 s6, 0xf8
	v_and_or_b32 v0, v9, s6, v11
	v_lshl_add_u32 v46, v0, 2, v33
	ds_read2_b32 v[0:1], v14 offset0:96 offset1:184
	ds_read2_b32 v[2:3], v32 offset1:88
	ds_read2_b32 v[4:5], v13 offset0:48 offset1:136
	ds_read2_b32 v[6:7], v15 offset0:16 offset1:104
	s_waitcnt lgkmcnt(0)
	v_lshrrev_b32_e32 v12, 16, v0
	v_lshrrev_b32_e32 v16, 16, v2
	;; [unrolled: 1-line block ×3, first 2 shown]
	s_waitcnt vmcnt(0)
	s_barrier
	s_movk_i32 s6, 0x1f8
	v_mul_f16_sdwa v18, v0, v43 dst_sel:DWORD dst_unused:UNUSED_PAD src0_sel:DWORD src1_sel:WORD_1
	v_mul_f16_sdwa v20, v12, v43 dst_sel:DWORD dst_unused:UNUSED_PAD src0_sel:DWORD src1_sel:WORD_1
	v_fma_f16 v12, v12, v43, v18
	v_fma_f16 v0, v0, v43, -v20
	v_sub_f16_e32 v0, v2, v0
	v_sub_f16_e32 v12, v16, v12
	v_mul_f16_sdwa v22, v17, v43 dst_sel:DWORD dst_unused:UNUSED_PAD src0_sel:DWORD src1_sel:WORD_1
	v_fma_f16 v16, v16, 2.0, -v12
	v_pack_b32_f16 v12, v0, v12
	v_fma_f16 v0, v2, 2.0, -v0
	v_mul_f16_sdwa v35, v1, v43 dst_sel:DWORD dst_unused:UNUSED_PAD src0_sel:DWORD src1_sel:WORD_1
	v_fma_f16 v1, v1, v43, -v22
	v_pack_b32_f16 v0, v0, v16
	v_fma_f16 v17, v17, v43, v35
	ds_write2_b32 v46, v0, v12 offset1:4
	v_sub_f16_e32 v0, v3, v1
	v_lshrrev_b32_e32 v1, 16, v3
	v_fma_f16 v2, v3, 2.0, -v0
	v_sub_f16_e32 v3, v1, v17
	v_fma_f16 v1, v1, 2.0, -v3
	v_pack_b32_f16 v1, v2, v1
	v_and_or_b32 v2, v10, s6, v11
	v_pack_b32_f16 v0, v0, v3
	v_lshl_add_u32 v47, v2, 2, v33
	ds_write2_b32 v47, v1, v0 offset1:4
	v_lshrrev_b32_e32 v0, 16, v6
	v_mul_f16_sdwa v1, v6, v43 dst_sel:DWORD dst_unused:UNUSED_PAD src0_sel:DWORD src1_sel:WORD_1
	v_fma_f16 v1, v0, v43, v1
	v_mul_f16_sdwa v0, v0, v43 dst_sel:DWORD dst_unused:UNUSED_PAD src0_sel:DWORD src1_sel:WORD_1
	v_fma_f16 v0, v6, v43, -v0
	v_lshrrev_b32_e32 v2, 16, v4
	v_sub_f16_e32 v0, v4, v0
	v_sub_f16_e32 v1, v2, v1
	s_movk_i32 s6, 0x3f8
	v_fma_f16 v2, v2, 2.0, -v1
	v_fma_f16 v3, v4, 2.0, -v0
	v_pack_b32_f16 v0, v0, v1
	v_and_or_b32 v1, v19, s6, v11
	v_pack_b32_f16 v2, v3, v2
	v_lshl_add_u32 v49, v1, 2, v33
	ds_write2_b32 v49, v2, v0 offset1:4
	v_lshrrev_b32_e32 v0, 16, v7
	v_mul_f16_sdwa v1, v0, v43 dst_sel:DWORD dst_unused:UNUSED_PAD src0_sel:DWORD src1_sel:WORD_1
	v_mul_f16_sdwa v2, v7, v43 dst_sel:DWORD dst_unused:UNUSED_PAD src0_sel:DWORD src1_sel:WORD_1
	v_fma_f16 v1, v7, v43, -v1
	v_fma_f16 v0, v0, v43, v2
	v_lshrrev_b32_e32 v2, 16, v5
	v_sub_f16_e32 v1, v5, v1
	v_sub_f16_e32 v0, v2, v0
	v_fma_f16 v3, v5, 2.0, -v1
	v_fma_f16 v2, v2, 2.0, -v0
	v_pack_b32_f16 v0, v1, v0
	v_and_or_b32 v1, v21, s6, v11
	v_pack_b32_f16 v2, v3, v2
	v_lshl_add_u32 v50, v1, 2, v33
	v_and_b32_e32 v22, 7, v30
	ds_write2_b32 v50, v2, v0 offset1:4
	v_lshlrev_b32_e32 v0, 2, v22
	s_waitcnt lgkmcnt(0)
	s_barrier
	global_load_dword v48, v0, s[2:3] offset:24
	s_movk_i32 s6, 0xf0
	v_and_or_b32 v0, v9, s6, v22
	v_lshl_add_u32 v53, v0, 2, v33
	v_and_or_b32 v0, v10, s7, v22
	v_lshl_add_u32 v52, v0, 2, v33
	ds_read2_b32 v[0:1], v14 offset0:96 offset1:184
	ds_read2_b32 v[2:3], v13 offset0:48 offset1:136
	;; [unrolled: 1-line block ×3, first 2 shown]
	ds_read2_b32 v[6:7], v32 offset1:88
	s_waitcnt lgkmcnt(0)
	v_lshrrev_b32_e32 v9, 16, v0
	v_lshrrev_b32_e32 v11, 16, v1
	s_waitcnt vmcnt(0)
	s_barrier
	v_lshrrev_b32_e32 v10, 16, v6
	v_lshrrev_b32_e32 v13, 16, v7
	s_movk_i32 s6, 0x3f0
	v_mul_f16_sdwa v12, v0, v48 dst_sel:DWORD dst_unused:UNUSED_PAD src0_sel:DWORD src1_sel:WORD_1
	v_mul_f16_sdwa v14, v9, v48 dst_sel:DWORD dst_unused:UNUSED_PAD src0_sel:DWORD src1_sel:WORD_1
	;; [unrolled: 1-line block ×4, first 2 shown]
	v_fma_f16 v9, v9, v48, v12
	v_fma_f16 v0, v0, v48, -v14
	v_fma_f16 v1, v1, v48, -v15
	v_fma_f16 v11, v11, v48, v16
	v_sub_f16_e32 v57, v10, v9
	v_sub_f16_e32 v16, v6, v0
	;; [unrolled: 1-line block ×4, first 2 shown]
	v_fma_f16 v15, v6, 2.0, -v16
	v_fma_f16 v56, v10, 2.0, -v57
	v_pack_b32_f16 v0, v16, v57
	v_fma_f16 v11, v7, 2.0, -v12
	v_fma_f16 v59, v13, 2.0, -v58
	v_pack_b32_f16 v1, v15, v56
	v_pack_b32_f16 v6, v11, v59
	ds_write2_b32 v53, v1, v0 offset1:8
	v_pack_b32_f16 v0, v12, v58
	ds_write2_b32 v52, v6, v0 offset1:8
	v_lshrrev_b32_e32 v0, 16, v4
	v_mul_f16_sdwa v1, v4, v48 dst_sel:DWORD dst_unused:UNUSED_PAD src0_sel:DWORD src1_sel:WORD_1
	v_fma_f16 v1, v0, v48, v1
	v_mul_f16_sdwa v0, v0, v48 dst_sel:DWORD dst_unused:UNUSED_PAD src0_sel:DWORD src1_sel:WORD_1
	v_fma_f16 v0, v4, v48, -v0
	v_lshrrev_b32_e32 v4, 16, v2
	v_sub_f16_e32 v62, v4, v1
	v_sub_f16_e32 v18, v2, v0
	v_fma_f16 v17, v2, 2.0, -v18
	v_fma_f16 v61, v4, 2.0, -v62
	v_and_or_b32 v0, v19, s6, v22
	v_lshl_add_u32 v54, v0, 2, v33
	v_pack_b32_f16 v0, v17, v61
	v_pack_b32_f16 v1, v18, v62
	ds_write2_b32 v54, v0, v1 offset1:8
	v_lshrrev_b32_e32 v0, 16, v5
	v_mul_f16_sdwa v1, v0, v48 dst_sel:DWORD dst_unused:UNUSED_PAD src0_sel:DWORD src1_sel:WORD_1
	v_fma_f16 v1, v5, v48, -v1
	v_mul_f16_sdwa v2, v5, v48 dst_sel:DWORD dst_unused:UNUSED_PAD src0_sel:DWORD src1_sel:WORD_1
	v_sub_f16_e32 v20, v3, v1
	v_lshrrev_b32_e32 v1, 16, v3
	v_fma_f16 v0, v0, v48, v2
	v_sub_f16_e32 v63, v1, v0
	v_fma_f16 v19, v3, 2.0, -v20
	v_and_or_b32 v2, v21, s6, v22
	v_fma_f16 v64, v1, 2.0, -v63
	v_lshl_add_u32 v55, v2, 2, v33
	v_pack_b32_f16 v0, v19, v64
	v_pack_b32_f16 v1, v20, v63
	ds_write2_b32 v55, v0, v1 offset1:8
	v_mov_b32_e32 v0, s1
	v_add_co_u32_e32 v13, vcc, s0, v34
	v_addc_co_u32_e32 v14, vcc, 0, v0, vcc
	v_cmp_gt_u16_e32 vcc, 64, v30
	s_waitcnt lgkmcnt(0)
	s_barrier
	s_waitcnt lgkmcnt(0)
                                        ; implicit-def: $vgpr21
	s_and_saveexec_b64 s[6:7], vcc
	s_cbranch_execz .LBB0_3
; %bb.2:
	v_or_b32_e32 v0, v51, v30
	v_lshlrev_b32_e32 v0, 2, v0
	ds_read2st64_b32 v[15:16], v0 offset1:1
	ds_read2st64_b32 v[11:12], v0 offset0:2 offset1:3
	ds_read2st64_b32 v[17:18], v0 offset0:4 offset1:5
	;; [unrolled: 1-line block ×4, first 2 shown]
	ds_read_b32 v65, v0 offset:2560
	s_waitcnt lgkmcnt(5)
	v_lshrrev_b32_e32 v56, 16, v15
	v_lshrrev_b32_e32 v57, 16, v16
	s_waitcnt lgkmcnt(4)
	v_lshrrev_b32_e32 v59, 16, v11
	v_lshrrev_b32_e32 v58, 16, v12
	;; [unrolled: 3-line block ×5, first 2 shown]
	s_waitcnt lgkmcnt(0)
	v_lshrrev_b32_e32 v75, 16, v65
.LBB0_3:
	s_or_b64 exec, exec, s[6:7]
	v_and_b32_e32 v35, 15, v30
	v_mad_u64_u32 v[66:67], s[6:7], v35, 40, s[2:3]
	s_movk_i32 s13, 0x36a6
	s_mov_b32 s14, 0xb08e
	global_load_dwordx4 v[0:3], v[66:67], off offset:56
	global_load_dwordx4 v[4:7], v[66:67], off offset:72
	global_load_dwordx2 v[9:10], v[66:67], off offset:88
	s_mov_b32 s15, 0xb93d
	s_mov_b32 s16, 0xbbad
	s_movk_i32 s12, 0x3abb
	s_mov_b32 s17, 0xb853
	s_mov_b32 s24, 0xbb47
	;; [unrolled: 1-line block ×4, first 2 shown]
	s_movk_i32 s25, 0x3482
	s_movk_i32 s18, 0x3b47
	;; [unrolled: 1-line block ×3, first 2 shown]
	s_mov_b32 s19, 0xb482
	s_movk_i32 s23, 0x3853
	s_waitcnt vmcnt(0)
	s_barrier
	v_mul_f16_sdwa v60, v57, v0 dst_sel:DWORD dst_unused:UNUSED_PAD src0_sel:DWORD src1_sel:WORD_1
	v_mul_f16_sdwa v66, v16, v0 dst_sel:DWORD dst_unused:UNUSED_PAD src0_sel:DWORD src1_sel:WORD_1
	;; [unrolled: 1-line block ×10, first 2 shown]
	v_fma_f16 v60, v16, v0, -v60
	v_fma_f16 v16, v57, v0, v66
	v_fma_f16 v57, v59, v1, v68
	v_fma_f16 v59, v73, v7, v83
	v_fma_f16 v73, v22, v9, -v84
	v_fma_f16 v22, v74, v9, v85
	v_fma_f16 v74, v65, v10, -v86
	v_fma_f16 v65, v75, v10, v87
	v_mul_f16_sdwa v70, v12, v2 dst_sel:DWORD dst_unused:UNUSED_PAD src0_sel:DWORD src1_sel:WORD_1
	v_mul_f16_sdwa v78, v64, v5 dst_sel:DWORD dst_unused:UNUSED_PAD src0_sel:DWORD src1_sel:WORD_1
	;; [unrolled: 1-line block ×3, first 2 shown]
	v_sub_f16_e32 v93, v16, v65
	v_mul_f16_sdwa v69, v58, v2 dst_sel:DWORD dst_unused:UNUSED_PAD src0_sel:DWORD src1_sel:WORD_1
	v_mul_f16_sdwa v71, v61, v3 dst_sel:DWORD dst_unused:UNUSED_PAD src0_sel:DWORD src1_sel:WORD_1
	v_mul_f16_sdwa v72, v17, v3 dst_sel:DWORD dst_unused:UNUSED_PAD src0_sel:DWORD src1_sel:WORD_1
	v_mul_f16_sdwa v76, v62, v4 dst_sel:DWORD dst_unused:UNUSED_PAD src0_sel:DWORD src1_sel:WORD_1
	v_mul_f16_sdwa v80, v63, v6 dst_sel:DWORD dst_unused:UNUSED_PAD src0_sel:DWORD src1_sel:WORD_1
	v_mul_f16_sdwa v81, v20, v6 dst_sel:DWORD dst_unused:UNUSED_PAD src0_sel:DWORD src1_sel:WORD_1
	v_fma_f16 v66, v11, v1, -v67
	v_fma_f16 v58, v58, v2, v70
	v_fma_f16 v70, v19, v5, -v78
	v_fma_f16 v19, v64, v5, v79
	v_add_f16_e32 v75, v60, v74
	v_sub_f16_e32 v92, v57, v22
	v_mul_f16_e32 v79, 0xbb47, v93
	v_mul_f16_e32 v85, 0xbbeb, v93
	v_mul_f16_sdwa v77, v18, v4 dst_sel:DWORD dst_unused:UNUSED_PAD src0_sel:DWORD src1_sel:WORD_1
	v_fma_f16 v67, v12, v2, -v69
	v_fma_f16 v68, v17, v3, -v71
	v_fma_f16 v17, v61, v3, v72
	v_fma_f16 v69, v18, v4, -v76
	v_fma_f16 v71, v20, v6, -v80
	v_fma_f16 v20, v63, v6, v81
	v_fma_f16 v72, v21, v7, -v82
	v_add_f16_e32 v76, v66, v73
	v_sub_f16_e32 v94, v58, v59
	v_mul_f16_e32 v80, 0xba0c, v92
	v_mul_f16_e32 v86, 0x3482, v92
	v_fma_f16 v11, v75, s13, v79
	v_fma_f16 v12, v75, s14, v85
	v_fma_f16 v18, v62, v4, v77
	v_add_f16_e32 v78, v67, v72
	v_sub_f16_e32 v98, v17, v20
	v_mul_f16_e32 v81, 0x3482, v94
	v_mul_f16_e32 v87, 0x3b47, v94
	v_fma_f16 v21, v76, s15, v80
	v_fma_f16 v61, v76, s16, v86
	v_add_f16_e32 v11, v15, v11
	v_add_f16_e32 v12, v15, v12
	;; [unrolled: 1-line block ×3, first 2 shown]
	v_sub_f16_e32 v101, v18, v19
	v_mul_f16_e32 v82, 0x3beb, v98
	v_mul_f16_e32 v88, 0xb853, v98
	v_fma_f16 v62, v78, s16, v81
	v_fma_f16 v63, v78, s13, v87
	v_add_f16_e32 v11, v21, v11
	v_add_f16_e32 v12, v61, v12
	;; [unrolled: 1-line block ×3, first 2 shown]
	v_mul_f16_e32 v84, 0x3853, v101
	v_fma_f16 v64, v83, s14, v82
	v_fma_f16 v95, v83, s12, v88
	v_add_f16_e32 v11, v62, v11
	v_add_f16_e32 v12, v63, v12
	v_sub_f16_e32 v111, v60, v74
	v_fma_f16 v96, v90, s12, v84
	v_add_f16_e32 v11, v64, v11
	v_add_f16_e32 v21, v95, v12
	;; [unrolled: 1-line block ×3, first 2 shown]
	v_mul_f16_e32 v95, 0xb853, v111
	v_sub_f16_e32 v112, v66, v73
	v_add_f16_e32 v12, v96, v11
	v_fma_f16 v61, v122, s12, -v95
	v_add_f16_e32 v123, v57, v22
	v_mul_f16_e32 v96, 0xbb47, v112
	v_add_f16_e32 v61, v56, v61
	v_fma_f16 v62, v123, s13, -v96
	v_mul_f16_e32 v102, 0xbb47, v111
	v_add_f16_e32 v61, v62, v61
	v_fma_f16 v62, v122, s13, -v102
	v_mul_f16_e32 v103, 0xba0c, v112
	v_mul_f16_e32 v77, 0xb853, v93
	;; [unrolled: 1-line block ×3, first 2 shown]
	v_add_f16_e32 v62, v56, v62
	v_fma_f16 v63, v123, s15, -v103
	v_mul_f16_e32 v108, 0xbbeb, v111
	v_mul_f16_e32 v89, 0xbb47, v92
	v_fma_f16 v97, v90, s15, v91
	v_fma_f16 v99, v75, s12, v77
	v_add_f16_e32 v62, v63, v62
	v_fma_f16 v63, v122, s14, -v108
	v_mul_f16_e32 v109, 0x3482, v112
	v_add_f16_e32 v99, v15, v99
	v_add_f16_e32 v11, v97, v21
	v_fma_f16 v21, v76, s13, v89
	v_add_f16_e32 v63, v56, v63
	v_fma_f16 v64, v123, s16, -v109
	v_mul_f16_e32 v97, 0xbbeb, v94
	v_sub_f16_e32 v116, v67, v72
	v_add_f16_e32 v21, v21, v99
	v_add_f16_e32 v63, v64, v63
	v_fma_f16 v64, v78, s14, v97
	v_add_f16_e32 v124, v58, v59
	v_mul_f16_e32 v100, 0xbbeb, v116
	v_add_f16_e32 v21, v64, v21
	v_fma_f16 v64, v124, s14, -v100
	v_mul_f16_e32 v106, 0x3482, v116
	v_add_f16_e32 v61, v64, v61
	v_fma_f16 v64, v124, s16, -v106
	;; [unrolled: 3-line block ×3, first 2 shown]
	v_mul_f16_e32 v99, 0xba0c, v98
	v_sub_f16_e32 v118, v68, v71
	v_add_f16_e32 v63, v64, v63
	v_fma_f16 v64, v83, s15, v99
	v_add_f16_e32 v121, v17, v20
	v_mul_f16_e32 v105, 0xba0c, v118
	v_add_f16_e32 v21, v64, v21
	v_fma_f16 v64, v121, s15, -v105
	v_mul_f16_e32 v110, 0x3beb, v118
	v_add_f16_e32 v61, v64, v61
	v_fma_f16 v64, v121, s14, -v110
	;; [unrolled: 3-line block ×3, first 2 shown]
	v_mul_f16_e32 v104, 0xb482, v101
	v_sub_f16_e32 v119, v69, v70
	v_add_f16_e32 v125, v64, v63
	v_fma_f16 v63, v90, s16, v104
	v_add_f16_e32 v120, v18, v19
	v_mul_f16_e32 v107, 0xb482, v119
	v_add_f16_e32 v63, v63, v21
	v_fma_f16 v21, v120, s16, -v107
	v_mul_f16_e32 v114, 0x3853, v119
	v_add_f16_e32 v64, v21, v61
	v_fma_f16 v21, v120, s12, -v114
	;; [unrolled: 3-line block ×3, first 2 shown]
	v_add_f16_e32 v61, v21, v125
	v_lshrrev_b32_e32 v21, 4, v30
	s_and_saveexec_b64 s[6:7], vcc
	s_cbranch_execz .LBB0_5
; %bb.4:
	v_mul_f16_e32 v143, 0xb93d, v122
	s_movk_i32 s26, 0x3a0c
	v_fma_f16 v144, v111, s26, v143
	v_mul_f16_e32 v145, 0xb08e, v123
	v_add_f16_e32 v144, v56, v144
	v_fma_f16 v146, v112, s22, v145
	v_add_f16_e32 v144, v146, v144
	v_mul_f16_e32 v146, 0x3abb, v124
	v_fma_f16 v147, v116, s23, v146
	v_add_f16_e32 v144, v147, v144
	v_mul_f16_e32 v147, 0xbbad, v121
	;; [unrolled: 3-line block ×4, first 2 shown]
	v_fma_f16 v150, v75, s15, v149
	v_mul_f16_e32 v151, 0x3beb, v92
	v_add_f16_e32 v150, v15, v150
	v_fma_f16 v152, v76, s14, v151
	v_add_f16_e32 v150, v152, v150
	v_mul_f16_e32 v152, 0xb853, v94
	v_fma_f16 v153, v78, s12, v152
	v_add_f16_e32 v150, v153, v150
	v_mul_f16_e32 v153, 0xb482, v98
	;; [unrolled: 3-line block ×3, first 2 shown]
	v_mul_f16_e32 v126, 0x3abb, v122
	v_mul_f16_e32 v128, 0x36a6, v122
	;; [unrolled: 1-line block ×3, first 2 shown]
	v_fma_f16 v155, v90, s13, v154
	v_mul_f16_e32 v122, 0xbbad, v122
	v_mul_f16_e32 v132, 0x36a6, v123
	;; [unrolled: 1-line block ×4, first 2 shown]
	v_add_f16_e32 v150, v155, v150
	v_fma_f16 v155, v111, s25, v122
	v_mul_f16_e32 v123, 0x3abb, v123
	v_mul_f16_e32 v138, 0xb08e, v124
	v_mul_f16_e32 v140, 0xbbad, v124
	v_mul_f16_e32 v142, 0x36a6, v124
	v_add_f16_e32 v155, v56, v155
	v_fma_f16 v156, v112, s17, v123
	v_mul_f16_e32 v124, 0xb93d, v124
	v_add_f16_e32 v155, v156, v155
	v_fma_f16 v156, v116, s26, v124
	v_add_f16_e32 v155, v156, v155
	v_mul_f16_e32 v156, 0x36a6, v121
	v_fma_f16 v157, v118, s24, v156
	v_add_f16_e32 v155, v157, v155
	v_mul_f16_e32 v157, 0xb08e, v120
	v_fma_f16 v158, v119, s20, v157
	v_mul_f16_e32 v93, 0xb482, v93
	v_mul_f16_e32 v125, 0x3abb, v75
	;; [unrolled: 1-line block ×4, first 2 shown]
	v_add_f16_e32 v155, v158, v155
	v_fma_f16 v158, v75, s16, v93
	v_mul_f16_e32 v92, 0x3853, v92
	v_fma_f16 v93, v75, s16, -v93
	v_fma_f16 v75, v75, s15, -v149
	v_mul_f16_e32 v131, 0x36a6, v76
	v_mul_f16_e32 v133, 0xb93d, v76
	;; [unrolled: 1-line block ×3, first 2 shown]
	v_fma_f16 v159, v76, s12, v92
	v_fma_f16 v92, v76, s12, -v92
	v_add_f16_e32 v75, v15, v75
	v_fma_f16 v76, v76, s14, -v151
	v_add_f16_e32 v75, v76, v75
	v_fma_f16 v76, v78, s12, -v152
	v_fma_f16 v122, v111, s19, v122
	v_add_f16_e32 v75, v76, v75
	v_fma_f16 v76, v83, s16, -v153
	v_add_f16_e32 v158, v15, v158
	v_mul_f16_e32 v94, 0xba0c, v94
	v_add_f16_e32 v122, v56, v122
	v_fma_f16 v123, v112, s23, v123
	v_add_f16_e32 v93, v15, v93
	v_add_f16_e32 v75, v76, v75
	v_fma_f16 v76, v90, s13, -v154
	v_add_f16_e32 v158, v159, v158
	v_fma_f16 v159, v78, s15, v94
	v_mul_f16_e32 v98, 0x3b47, v98
	v_add_f16_e32 v122, v123, v122
	v_fma_f16 v124, v116, s21, v124
	v_add_f16_e32 v92, v92, v93
	v_fma_f16 v94, v78, s15, -v94
	v_add_f16_e32 v75, v76, v75
	v_add_f16_e32 v76, v108, v130
	v_mul_f16_e32 v137, 0xb08e, v78
	v_mul_f16_e32 v139, 0xbbad, v78
	;; [unrolled: 1-line block ×3, first 2 shown]
	v_add_f16_e32 v158, v159, v158
	v_fma_f16 v159, v83, s13, v98
	v_mul_f16_e32 v101, 0xbbeb, v101
	v_add_f16_e32 v122, v124, v122
	v_fma_f16 v156, v118, s18, v156
	v_add_f16_e32 v92, v94, v92
	v_fma_f16 v98, v83, s13, -v98
	v_add_f16_e32 v76, v56, v76
	v_add_f16_e32 v78, v109, v136
	v_sub_f16_e32 v79, v127, v79
	v_add_f16_e32 v158, v159, v158
	v_fma_f16 v159, v90, s14, v101
	v_mul_f16_e32 v123, 0xb93d, v121
	v_add_f16_e32 v122, v156, v122
	v_mul_f16_e32 v156, 0xb08e, v121
	v_mul_f16_e32 v121, 0x3abb, v121
	v_add_f16_e32 v92, v98, v92
	v_fma_f16 v101, v90, s14, -v101
	v_add_f16_e32 v76, v78, v76
	v_add_f16_e32 v78, v113, v142
	;; [unrolled: 1-line block ×3, first 2 shown]
	v_sub_f16_e32 v80, v133, v80
	v_mul_f16_e32 v124, 0xb08e, v83
	v_mul_f16_e32 v94, 0xbbad, v120
	v_add_f16_e32 v92, v101, v92
	v_mul_f16_e32 v101, 0x3abb, v120
	v_mul_f16_e32 v120, 0xb93d, v120
	v_add_f16_e32 v76, v78, v76
	v_add_f16_e32 v78, v115, v121
	;; [unrolled: 1-line block ×3, first 2 shown]
	v_sub_f16_e32 v80, v139, v81
	v_mul_f16_e32 v98, 0x3abb, v90
	v_add_f16_e32 v76, v78, v76
	v_add_f16_e32 v78, v117, v120
	;; [unrolled: 1-line block ×3, first 2 shown]
	v_sub_f16_e32 v80, v124, v82
	v_add_f16_e32 v76, v78, v76
	v_sub_f16_e32 v78, v129, v85
	v_add_f16_e32 v79, v80, v79
	v_sub_f16_e32 v80, v98, v84
	v_sub_f16_e32 v77, v125, v77
	v_fma_f16 v157, v119, s22, v157
	v_add_f16_e32 v78, v15, v78
	v_add_f16_e32 v79, v80, v79
	;; [unrolled: 1-line block ×7, first 2 shown]
	v_mul_f16_e32 v159, 0xb93d, v83
	v_add_f16_e32 v122, v157, v122
	v_mul_f16_e32 v157, 0x3abb, v83
	v_sub_f16_e32 v83, v135, v86
	v_add_f16_e32 v80, v56, v80
	v_add_f16_e32 v81, v96, v132
	;; [unrolled: 1-line block ×5, first 2 shown]
	v_sub_f16_e32 v83, v141, v87
	v_add_f16_e32 v80, v81, v80
	v_add_f16_e32 v81, v100, v138
	;; [unrolled: 1-line block ×4, first 2 shown]
	v_fma_f16 v111, v111, s21, v143
	v_mul_f16_e32 v143, 0xb93d, v90
	v_add_f16_e32 v78, v83, v78
	v_sub_f16_e32 v83, v157, v88
	v_add_f16_e32 v80, v81, v80
	v_add_f16_e32 v81, v105, v123
	;; [unrolled: 1-line block ×5, first 2 shown]
	v_sub_f16_e32 v83, v143, v91
	v_add_f16_e32 v80, v81, v80
	v_add_f16_e32 v81, v107, v94
	;; [unrolled: 1-line block ×7, first 2 shown]
	v_sub_f16_e32 v81, v131, v89
	v_add_f16_e32 v15, v15, v70
	v_add_f16_e32 v16, v16, v19
	;; [unrolled: 1-line block ×5, first 2 shown]
	v_sub_f16_e32 v81, v137, v97
	v_add_f16_e32 v15, v15, v71
	v_add_f16_e32 v16, v16, v20
	v_mul_f16_e32 v93, 0xbbad, v90
	v_add_f16_e32 v111, v56, v111
	v_fma_f16 v112, v112, s20, v145
	v_add_f16_e32 v83, v85, v83
	v_add_f16_e32 v85, v106, v140
	v_add_f16_e32 v77, v81, v77
	v_sub_f16_e32 v81, v159, v99
	v_add_f16_e32 v15, v15, v72
	v_add_f16_e32 v16, v16, v59
	;; [unrolled: 1-line block ×3, first 2 shown]
	v_fma_f16 v112, v116, s17, v146
	v_add_f16_e32 v83, v85, v83
	v_add_f16_e32 v85, v110, v156
	;; [unrolled: 1-line block ×3, first 2 shown]
	v_sub_f16_e32 v81, v93, v104
	v_add_f16_e32 v15, v15, v73
	v_add_f16_e32 v16, v16, v22
	v_mul_u32_u24_e32 v17, 0xb0, v21
	v_add_f16_e32 v111, v112, v111
	v_fma_f16 v112, v118, s19, v147
	v_add_f16_e32 v83, v85, v83
	v_add_f16_e32 v85, v114, v101
	;; [unrolled: 1-line block ×5, first 2 shown]
	v_or_b32_e32 v17, v17, v35
	v_add_f16_e32 v111, v112, v111
	v_fma_f16 v112, v119, s18, v148
	v_add_f16_e32 v83, v85, v83
	v_lshl_add_u32 v17, v17, 2, v33
	v_pack_b32_f16 v15, v15, v16
	v_pack_b32_f16 v16, v77, v80
	v_add_f16_e32 v111, v112, v111
	ds_write2_b32 v17, v15, v16 offset1:16
	v_pack_b32_f16 v15, v79, v83
	v_pack_b32_f16 v16, v78, v76
	ds_write2_b32 v17, v15, v16 offset0:32 offset1:48
	v_pack_b32_f16 v15, v75, v111
	v_pack_b32_f16 v16, v92, v122
	ds_write2_b32 v17, v15, v16 offset0:64 offset1:80
	v_pack_b32_f16 v15, v158, v155
	v_pack_b32_f16 v16, v150, v144
	s_mov_b32 s12, 0x5040100
	ds_write2_b32 v17, v15, v16 offset0:96 offset1:112
	v_perm_b32 v15, v61, v11, s12
	v_perm_b32 v16, v62, v12, s12
	ds_write2_b32 v17, v15, v16 offset0:128 offset1:144
	v_perm_b32 v15, v64, v63, s12
	ds_write_b32 v17, v15 offset:640
.LBB0_5:
	s_or_b64 exec, exec, s[6:7]
	s_waitcnt lgkmcnt(0)
	s_barrier
	global_load_dword v22, v34, s[2:3] offset:696
	global_load_dword v56, v34, s[2:3] offset:1048
	v_add_u32_e32 v17, 0x400, v32
	ds_read2_b32 v[18:19], v32 offset1:88
	v_add_u32_e32 v16, 0x200, v32
	v_add_u32_e32 v15, 0x800, v32
	ds_read2_b32 v[57:58], v17 offset0:96 offset1:184
	ds_read2_b32 v[59:60], v16 offset0:48 offset1:136
	;; [unrolled: 1-line block ×3, first 2 shown]
	s_waitcnt lgkmcnt(0)
	v_lshrrev_b32_e32 v20, 16, v18
	v_lshrrev_b32_e32 v68, 16, v57
	;; [unrolled: 1-line block ×8, first 2 shown]
	s_waitcnt vmcnt(0)
	s_barrier
	v_lshl_add_u32 v51, v51, 2, v34
	s_add_u32 s0, s0, 0xb00
	s_addc_u32 s1, s1, 0
	v_mul_f16_sdwa v74, v68, v22 dst_sel:DWORD dst_unused:UNUSED_PAD src0_sel:DWORD src1_sel:WORD_1
	v_mul_f16_sdwa v75, v57, v22 dst_sel:DWORD dst_unused:UNUSED_PAD src0_sel:DWORD src1_sel:WORD_1
	;; [unrolled: 1-line block ×8, first 2 shown]
	v_fma_f16 v57, v57, v22, -v74
	v_fma_f16 v68, v68, v22, v75
	v_fma_f16 v58, v58, v56, -v76
	v_fma_f16 v69, v69, v56, v77
	;; [unrolled: 2-line block ×4, first 2 shown]
	v_sub_f16_e32 v57, v18, v57
	v_sub_f16_e32 v68, v20, v68
	;; [unrolled: 1-line block ×8, first 2 shown]
	v_fma_f16 v18, v18, 2.0, -v57
	v_fma_f16 v19, v19, 2.0, -v58
	;; [unrolled: 1-line block ×4, first 2 shown]
	v_pack_b32_f16 v57, v57, v68
	v_pack_b32_f16 v58, v58, v69
	v_fma_f16 v20, v20, 2.0, -v68
	v_fma_f16 v67, v67, 2.0, -v69
	;; [unrolled: 1-line block ×4, first 2 shown]
	v_pack_b32_f16 v65, v65, v71
	v_pack_b32_f16 v66, v66, v73
	ds_write2_b32 v16, v57, v58 offset0:48 offset1:136
	v_pack_b32_f16 v57, v60, v72
	v_pack_b32_f16 v18, v18, v20
	;; [unrolled: 1-line block ×4, first 2 shown]
	ds_write2_b32 v15, v65, v66 offset0:16 offset1:104
	ds_write2_b32 v32, v18, v19 offset1:88
	ds_write2_b32 v17, v20, v57 offset0:96 offset1:184
	s_waitcnt lgkmcnt(0)
	s_barrier
	global_load_dword v57, v34, s[2:3] offset:1400
	global_load_dword v58, v34, s[2:3] offset:1752
	;; [unrolled: 1-line block ×4, first 2 shown]
	ds_read2_b32 v[18:19], v32 offset1:88
	ds_read2_b32 v[65:66], v17 offset0:96 offset1:184
	ds_read2_b32 v[67:68], v16 offset0:48 offset1:136
	;; [unrolled: 1-line block ×3, first 2 shown]
	v_add_u32_e32 v20, 0x800, v51
	s_waitcnt lgkmcnt(3)
	v_lshrrev_b32_e32 v71, 16, v18
	s_waitcnt lgkmcnt(2)
	v_lshrrev_b32_e32 v72, 16, v65
	v_lshrrev_b32_e32 v74, 16, v66
	s_waitcnt lgkmcnt(0)
	v_lshrrev_b32_e32 v76, 16, v69
	v_lshrrev_b32_e32 v78, 16, v70
	;; [unrolled: 1-line block ×5, first 2 shown]
	s_waitcnt vmcnt(3)
	v_mul_f16_sdwa v79, v72, v57 dst_sel:DWORD dst_unused:UNUSED_PAD src0_sel:DWORD src1_sel:WORD_1
	v_mul_f16_sdwa v80, v65, v57 dst_sel:DWORD dst_unused:UNUSED_PAD src0_sel:DWORD src1_sel:WORD_1
	s_waitcnt vmcnt(2)
	v_mul_f16_sdwa v81, v74, v58 dst_sel:DWORD dst_unused:UNUSED_PAD src0_sel:DWORD src1_sel:WORD_1
	v_mul_f16_sdwa v82, v66, v58 dst_sel:DWORD dst_unused:UNUSED_PAD src0_sel:DWORD src1_sel:WORD_1
	;; [unrolled: 3-line block ×4, first 2 shown]
	v_fma_f16 v65, v65, v57, -v79
	v_fma_f16 v72, v72, v57, v80
	v_fma_f16 v66, v66, v58, -v81
	v_fma_f16 v74, v74, v58, v82
	;; [unrolled: 2-line block ×4, first 2 shown]
	v_sub_f16_e32 v65, v18, v65
	v_sub_f16_e32 v72, v71, v72
	;; [unrolled: 1-line block ×8, first 2 shown]
	v_fma_f16 v18, v18, 2.0, -v65
	v_fma_f16 v71, v71, 2.0, -v72
	;; [unrolled: 1-line block ×8, first 2 shown]
	v_pack_b32_f16 v65, v65, v72
	v_pack_b32_f16 v69, v69, v76
	;; [unrolled: 1-line block ×6, first 2 shown]
	ds_write_b32 v32, v65 offset:1408
	v_pack_b32_f16 v65, v67, v75
	v_pack_b32_f16 v67, v68, v77
	ds_write2_b32 v32, v18, v19 offset1:88
	ds_write_b32 v32, v66 offset:1760
	ds_write2_b32 v16, v65, v67 offset0:48 offset1:136
	ds_write2_b32 v20, v69, v70 offset0:16 offset1:104
	s_waitcnt lgkmcnt(0)
	s_barrier
	global_load_dword v20, v[13:14], off offset:2816
	global_load_dword v69, v34, s[0:1] offset:1408
	global_load_dword v70, v34, s[0:1] offset:352
	;; [unrolled: 1-line block ×7, first 2 shown]
	ds_read2_b32 v[13:14], v32 offset1:88
	ds_read2_b32 v[18:19], v17 offset0:96 offset1:184
	ds_read2_b32 v[65:66], v16 offset0:48 offset1:136
	;; [unrolled: 1-line block ×3, first 2 shown]
	s_waitcnt lgkmcnt(3)
	v_lshrrev_b32_e32 v34, 16, v13
	s_waitcnt lgkmcnt(2)
	v_lshrrev_b32_e32 v76, 16, v18
	v_lshrrev_b32_e32 v77, 16, v14
	;; [unrolled: 1-line block ×3, first 2 shown]
	s_waitcnt lgkmcnt(1)
	v_lshrrev_b32_e32 v79, 16, v65
	s_waitcnt lgkmcnt(0)
	v_lshrrev_b32_e32 v80, 16, v67
	v_lshrrev_b32_e32 v81, 16, v66
	;; [unrolled: 1-line block ×3, first 2 shown]
	s_waitcnt vmcnt(6)
	v_mul_f16_sdwa v85, v76, v69 dst_sel:DWORD dst_unused:UNUSED_PAD src0_sel:DWORD src1_sel:WORD_1
	v_mul_f16_sdwa v86, v18, v69 dst_sel:DWORD dst_unused:UNUSED_PAD src0_sel:DWORD src1_sel:WORD_1
	s_waitcnt vmcnt(5)
	v_mul_f16_sdwa v87, v77, v70 dst_sel:DWORD dst_unused:UNUSED_PAD src0_sel:DWORD src1_sel:WORD_1
	v_mul_f16_sdwa v88, v14, v70 dst_sel:DWORD dst_unused:UNUSED_PAD src0_sel:DWORD src1_sel:WORD_1
	;; [unrolled: 3-line block ×3, first 2 shown]
	v_mul_f16_sdwa v84, v13, v20 dst_sel:DWORD dst_unused:UNUSED_PAD src0_sel:DWORD src1_sel:WORD_1
	v_mul_f16_sdwa v90, v19, v71 dst_sel:DWORD dst_unused:UNUSED_PAD src0_sel:DWORD src1_sel:WORD_1
	s_waitcnt vmcnt(3)
	v_mul_f16_sdwa v91, v79, v72 dst_sel:DWORD dst_unused:UNUSED_PAD src0_sel:DWORD src1_sel:WORD_1
	v_mul_f16_sdwa v92, v65, v72 dst_sel:DWORD dst_unused:UNUSED_PAD src0_sel:DWORD src1_sel:WORD_1
	s_waitcnt vmcnt(2)
	;; [unrolled: 3-line block ×3, first 2 shown]
	v_mul_f16_sdwa v95, v81, v75 dst_sel:DWORD dst_unused:UNUSED_PAD src0_sel:DWORD src1_sel:WORD_1
	v_mul_f16_sdwa v96, v66, v75 dst_sel:DWORD dst_unused:UNUSED_PAD src0_sel:DWORD src1_sel:WORD_1
	;; [unrolled: 1-line block ×4, first 2 shown]
	v_fma_f16 v13, v13, v20, -v83
	v_fma_f16 v20, v34, v20, v84
	v_fma_f16 v18, v18, v69, -v85
	v_fma_f16 v34, v76, v69, v86
	;; [unrolled: 2-line block ×8, first 2 shown]
	v_pack_b32_f16 v13, v13, v20
	v_pack_b32_f16 v18, v18, v34
	v_pack_b32_f16 v14, v14, v69
	v_pack_b32_f16 v19, v19, v70
	v_pack_b32_f16 v20, v65, v71
	v_pack_b32_f16 v65, v66, v73
	v_pack_b32_f16 v66, v68, v74
	v_pack_b32_f16 v34, v67, v72
	ds_write2_b32 v32, v13, v14 offset1:88
	ds_write2_b32 v17, v18, v19 offset0:96 offset1:184
	ds_write2_b32 v16, v20, v65 offset0:48 offset1:136
	;; [unrolled: 1-line block ×3, first 2 shown]
	s_waitcnt lgkmcnt(0)
	s_barrier
	ds_read2_b32 v[13:14], v32 offset1:88
	ds_read2_b32 v[18:19], v17 offset0:96 offset1:184
	ds_read2_b32 v[65:66], v16 offset0:48 offset1:136
	;; [unrolled: 1-line block ×3, first 2 shown]
	s_waitcnt lgkmcnt(0)
	s_barrier
	v_pk_add_f16 v20, v13, v18 neg_lo:[0,1] neg_hi:[0,1]
	v_pk_add_f16 v69, v14, v19 neg_lo:[0,1] neg_hi:[0,1]
	;; [unrolled: 1-line block ×4, first 2 shown]
	v_pk_fma_f16 v19, v13, 2.0, v20 op_sel_hi:[1,0,1] neg_lo:[0,0,1] neg_hi:[0,0,1]
	v_pk_fma_f16 v68, v14, 2.0, v69 op_sel_hi:[1,0,1] neg_lo:[0,0,1] neg_hi:[0,0,1]
	;; [unrolled: 1-line block ×4, first 2 shown]
	ds_write_b64 v37, v[19:20]
	ds_write_b64 v38, v[68:69]
	;; [unrolled: 1-line block ×4, first 2 shown]
	s_waitcnt lgkmcnt(0)
	s_barrier
	ds_read2_b32 v[13:14], v32 offset1:88
	ds_read2_b32 v[18:19], v17 offset0:96 offset1:184
	ds_read2_b32 v[37:38], v16 offset0:48 offset1:136
	;; [unrolled: 1-line block ×3, first 2 shown]
	s_waitcnt lgkmcnt(0)
	v_lshrrev_b32_e32 v20, 16, v13
	v_lshrrev_b32_e32 v34, 16, v18
	;; [unrolled: 1-line block ×3, first 2 shown]
	v_mul_f16_sdwa v71, v36, v18 dst_sel:DWORD dst_unused:UNUSED_PAD src0_sel:WORD_1 src1_sel:DWORD
	v_mul_f16_sdwa v75, v36, v34 dst_sel:DWORD dst_unused:UNUSED_PAD src0_sel:WORD_1 src1_sel:DWORD
	v_lshrrev_b32_e32 v68, 16, v39
	v_lshrrev_b32_e32 v70, 16, v40
	v_mul_f16_sdwa v72, v36, v19 dst_sel:DWORD dst_unused:UNUSED_PAD src0_sel:WORD_1 src1_sel:DWORD
	v_mul_f16_sdwa v73, v36, v39 dst_sel:DWORD dst_unused:UNUSED_PAD src0_sel:WORD_1 src1_sel:DWORD
	v_fma_f16 v34, v36, v34, -v71
	v_mul_f16_sdwa v71, v36, v66 dst_sel:DWORD dst_unused:UNUSED_PAD src0_sel:WORD_1 src1_sel:DWORD
	v_fma_f16 v18, v36, v18, v75
	v_lshrrev_b32_e32 v65, 16, v14
	v_mul_f16_sdwa v74, v36, v40 dst_sel:DWORD dst_unused:UNUSED_PAD src0_sel:WORD_1 src1_sel:DWORD
	v_fma_f16 v66, v36, v66, -v72
	v_mul_f16_sdwa v72, v36, v68 dst_sel:DWORD dst_unused:UNUSED_PAD src0_sel:WORD_1 src1_sel:DWORD
	v_fma_f16 v68, v36, v68, -v73
	v_mul_f16_sdwa v73, v36, v70 dst_sel:DWORD dst_unused:UNUSED_PAD src0_sel:WORD_1 src1_sel:DWORD
	v_fma_f16 v19, v36, v19, v71
	v_sub_f16_e32 v34, v20, v34
	v_sub_f16_e32 v18, v13, v18
	v_lshrrev_b32_e32 v67, 16, v37
	v_fma_f16 v70, v36, v70, -v74
	v_fma_f16 v39, v36, v39, v72
	v_fma_f16 v36, v36, v40, v73
	v_sub_f16_e32 v40, v65, v66
	v_fma_f16 v20, v20, 2.0, -v34
	v_sub_f16_e32 v19, v14, v19
	v_fma_f16 v13, v13, 2.0, -v18
	v_lshrrev_b32_e32 v69, 16, v38
	v_sub_f16_e32 v66, v67, v68
	v_fma_f16 v65, v65, 2.0, -v40
	v_sub_f16_e32 v39, v37, v39
	v_fma_f16 v14, v14, 2.0, -v19
	v_pack_b32_f16 v13, v13, v20
	v_pack_b32_f16 v18, v18, v34
	v_sub_f16_e32 v68, v69, v70
	v_fma_f16 v67, v67, 2.0, -v66
	v_sub_f16_e32 v36, v38, v36
	v_fma_f16 v37, v37, 2.0, -v39
	s_barrier
	ds_write2_b32 v41, v13, v18 offset1:2
	v_pack_b32_f16 v13, v14, v65
	v_pack_b32_f16 v14, v19, v40
	v_fma_f16 v38, v38, 2.0, -v36
	v_fma_f16 v69, v69, 2.0, -v68
	ds_write2_b32 v42, v13, v14 offset1:2
	v_pack_b32_f16 v13, v37, v67
	v_pack_b32_f16 v14, v39, v66
	ds_write2_b32 v44, v13, v14 offset1:2
	v_pack_b32_f16 v13, v38, v69
	v_pack_b32_f16 v14, v36, v68
	ds_write2_b32 v45, v13, v14 offset1:2
	s_waitcnt lgkmcnt(0)
	s_barrier
	ds_read2_b32 v[13:14], v32 offset1:88
	ds_read2_b32 v[18:19], v17 offset0:96 offset1:184
	ds_read2_b32 v[36:37], v16 offset0:48 offset1:136
	;; [unrolled: 1-line block ×3, first 2 shown]
	s_waitcnt lgkmcnt(0)
	s_barrier
	v_lshrrev_b32_e32 v20, 16, v13
	v_lshrrev_b32_e32 v34, 16, v18
	v_mul_f16_sdwa v66, v43, v34 dst_sel:DWORD dst_unused:UNUSED_PAD src0_sel:WORD_1 src1_sel:DWORD
	v_lshrrev_b32_e32 v41, 16, v19
	v_fma_f16 v66, v43, v18, v66
	v_mul_f16_sdwa v18, v43, v18 dst_sel:DWORD dst_unused:UNUSED_PAD src0_sel:WORD_1 src1_sel:DWORD
	v_fma_f16 v18, v43, v34, -v18
	v_mul_f16_sdwa v34, v43, v41 dst_sel:DWORD dst_unused:UNUSED_PAD src0_sel:WORD_1 src1_sel:DWORD
	v_lshrrev_b32_e32 v44, 16, v38
	v_fma_f16 v34, v43, v19, v34
	v_mul_f16_sdwa v19, v43, v19 dst_sel:DWORD dst_unused:UNUSED_PAD src0_sel:WORD_1 src1_sel:DWORD
	v_fma_f16 v19, v43, v41, -v19
	;; [unrolled: 5-line block ×3, first 2 shown]
	v_mul_f16_sdwa v44, v43, v65 dst_sel:DWORD dst_unused:UNUSED_PAD src0_sel:WORD_1 src1_sel:DWORD
	v_fma_f16 v44, v43, v39, v44
	v_mul_f16_sdwa v39, v43, v39 dst_sel:DWORD dst_unused:UNUSED_PAD src0_sel:WORD_1 src1_sel:DWORD
	v_lshrrev_b32_e32 v40, 16, v14
	v_fma_f16 v39, v43, v65, -v39
	v_sub_f16_e32 v43, v13, v66
	v_sub_f16_e32 v18, v20, v18
	v_lshrrev_b32_e32 v42, 16, v36
	v_fma_f16 v13, v13, 2.0, -v43
	v_fma_f16 v20, v20, 2.0, -v18
	v_sub_f16_e32 v34, v14, v34
	v_sub_f16_e32 v19, v40, v19
	v_lshrrev_b32_e32 v45, 16, v37
	v_fma_f16 v14, v14, 2.0, -v34
	v_fma_f16 v40, v40, 2.0, -v19
	v_sub_f16_e32 v41, v36, v41
	v_sub_f16_e32 v38, v42, v38
	v_pack_b32_f16 v13, v13, v20
	v_pack_b32_f16 v18, v43, v18
	v_fma_f16 v36, v36, 2.0, -v41
	v_fma_f16 v42, v42, 2.0, -v38
	v_sub_f16_e32 v44, v37, v44
	v_sub_f16_e32 v39, v45, v39
	ds_write2_b32 v46, v13, v18 offset1:4
	v_pack_b32_f16 v13, v14, v40
	v_pack_b32_f16 v14, v34, v19
	v_fma_f16 v37, v37, 2.0, -v44
	v_fma_f16 v45, v45, 2.0, -v39
	ds_write2_b32 v47, v13, v14 offset1:4
	v_pack_b32_f16 v13, v36, v42
	v_pack_b32_f16 v14, v41, v38
	ds_write2_b32 v49, v13, v14 offset1:4
	v_pack_b32_f16 v13, v37, v45
	v_pack_b32_f16 v14, v44, v39
	ds_write2_b32 v50, v13, v14 offset1:4
	s_waitcnt lgkmcnt(0)
	s_barrier
	ds_read2_b32 v[18:19], v32 offset1:88
	ds_read2_b32 v[13:14], v17 offset0:96 offset1:184
	ds_read2_b32 v[39:40], v16 offset0:48 offset1:136
	;; [unrolled: 1-line block ×3, first 2 shown]
	s_waitcnt lgkmcnt(0)
	s_barrier
	v_lshrrev_b32_e32 v17, 16, v18
	v_lshrrev_b32_e32 v20, 16, v13
	v_mul_f16_sdwa v41, v48, v20 dst_sel:DWORD dst_unused:UNUSED_PAD src0_sel:WORD_1 src1_sel:DWORD
	v_lshrrev_b32_e32 v36, 16, v14
	v_fma_f16 v41, v48, v13, v41
	v_mul_f16_sdwa v13, v48, v13 dst_sel:DWORD dst_unused:UNUSED_PAD src0_sel:WORD_1 src1_sel:DWORD
	v_fma_f16 v13, v48, v20, -v13
	v_mul_f16_sdwa v20, v48, v36 dst_sel:DWORD dst_unused:UNUSED_PAD src0_sel:WORD_1 src1_sel:DWORD
	v_lshrrev_b32_e32 v37, 16, v15
	v_fma_f16 v20, v48, v14, v20
	v_mul_f16_sdwa v14, v48, v14 dst_sel:DWORD dst_unused:UNUSED_PAD src0_sel:WORD_1 src1_sel:DWORD
	v_fma_f16 v36, v48, v36, -v14
	;; [unrolled: 5-line block ×3, first 2 shown]
	v_mul_f16_sdwa v14, v48, v38 dst_sel:DWORD dst_unused:UNUSED_PAD src0_sel:WORD_1 src1_sel:DWORD
	v_fma_f16 v47, v48, v16, v14
	v_mul_f16_sdwa v14, v48, v16 dst_sel:DWORD dst_unused:UNUSED_PAD src0_sel:WORD_1 src1_sel:DWORD
	v_lshrrev_b32_e32 v34, 16, v19
	v_fma_f16 v48, v48, v38, -v14
	v_sub_f16_e32 v14, v18, v41
	v_sub_f16_e32 v44, v17, v13
	v_lshrrev_b32_e32 v42, 16, v39
	v_fma_f16 v13, v18, 2.0, -v14
	v_fma_f16 v37, v17, 2.0, -v44
	v_sub_f16_e32 v20, v19, v20
	v_sub_f16_e32 v41, v34, v36
	v_lshrrev_b32_e32 v45, 16, v40
	v_fma_f16 v19, v19, 2.0, -v20
	v_fma_f16 v43, v34, 2.0, -v41
	v_sub_f16_e32 v16, v39, v46
	v_sub_f16_e32 v38, v42, v15
	v_pack_b32_f16 v34, v13, v37
	v_pack_b32_f16 v36, v14, v44
	v_fma_f16 v15, v39, 2.0, -v16
	v_fma_f16 v39, v42, 2.0, -v38
	v_sub_f16_e32 v18, v40, v47
	v_sub_f16_e32 v42, v45, v48
	ds_write2_b32 v53, v34, v36 offset1:8
	v_pack_b32_f16 v34, v19, v43
	v_pack_b32_f16 v36, v20, v41
	v_fma_f16 v17, v40, 2.0, -v18
	v_fma_f16 v40, v45, 2.0, -v42
	ds_write2_b32 v52, v34, v36 offset1:8
	v_pack_b32_f16 v34, v15, v39
	v_pack_b32_f16 v36, v16, v38
	ds_write2_b32 v54, v34, v36 offset1:8
	v_pack_b32_f16 v34, v17, v40
	v_pack_b32_f16 v36, v18, v42
	ds_write2_b32 v55, v34, v36 offset1:8
	s_waitcnt lgkmcnt(0)
	s_barrier
	s_and_saveexec_b64 s[0:1], vcc
	s_cbranch_execz .LBB0_7
; %bb.6:
	ds_read2st64_b32 v[13:14], v32 offset1:1
	ds_read2st64_b32 v[19:20], v32 offset0:2 offset1:3
	ds_read2st64_b32 v[15:16], v32 offset0:4 offset1:5
	;; [unrolled: 1-line block ×4, first 2 shown]
	ds_read_b32 v63, v32 offset:2560
	s_waitcnt lgkmcnt(5)
	v_lshrrev_b32_e32 v37, 16, v13
	v_lshrrev_b32_e32 v44, 16, v14
	s_waitcnt lgkmcnt(4)
	v_lshrrev_b32_e32 v43, 16, v19
	v_lshrrev_b32_e32 v41, 16, v20
	;; [unrolled: 3-line block ×5, first 2 shown]
	s_waitcnt lgkmcnt(0)
	v_lshrrev_b32_e32 v64, 16, v63
.LBB0_7:
	s_or_b64 exec, exec, s[0:1]
	v_add_u32_e32 v36, 0x2c0, v51
	v_add_u32_e32 v34, 0x420, v51
	s_barrier
	s_and_saveexec_b64 s[0:1], vcc
	s_cbranch_execz .LBB0_9
; %bb.8:
	v_mul_f16_sdwa v45, v0, v44 dst_sel:DWORD dst_unused:UNUSED_PAD src0_sel:WORD_1 src1_sel:DWORD
	v_mul_f16_sdwa v46, v10, v64 dst_sel:DWORD dst_unused:UNUSED_PAD src0_sel:WORD_1 src1_sel:DWORD
	;; [unrolled: 1-line block ×4, first 2 shown]
	v_fma_f16 v45, v0, v14, v45
	v_fma_f16 v46, v10, v63, v46
	v_fma_f16 v10, v10, v64, -v49
	v_mul_f16_sdwa v14, v0, v14 dst_sel:DWORD dst_unused:UNUSED_PAD src0_sel:WORD_1 src1_sel:DWORD
	v_mul_f16_sdwa v49, v1, v43 dst_sel:DWORD dst_unused:UNUSED_PAD src0_sel:WORD_1 src1_sel:DWORD
	v_fma_f16 v50, v9, v12, v50
	v_mul_f16_sdwa v12, v9, v12 dst_sel:DWORD dst_unused:UNUSED_PAD src0_sel:WORD_1 src1_sel:DWORD
	v_sub_f16_e32 v47, v45, v46
	v_fma_f16 v0, v0, v44, -v14
	v_fma_f16 v49, v1, v19, v49
	v_fma_f16 v9, v9, v62, -v12
	v_mul_f16_sdwa v12, v1, v19 dst_sel:DWORD dst_unused:UNUSED_PAD src0_sel:WORD_1 src1_sel:DWORD
	v_mul_f16_e32 v48, 0xba0c, v47
	v_add_f16_e32 v14, v10, v0
	s_mov_b32 s2, 0xb93d
	v_sub_f16_e32 v51, v49, v50
	v_fma_f16 v1, v1, v43, -v12
	v_fma_f16 v44, v14, s2, v48
	v_mul_f16_e32 v52, 0x3beb, v51
	v_add_f16_e32 v12, v9, v1
	s_mov_b32 s6, 0xb08e
	v_add_f16_e32 v44, v37, v44
	v_fma_f16 v19, v12, s6, v52
	v_add_f16_e32 v19, v19, v44
	v_mul_f16_sdwa v44, v7, v61 dst_sel:DWORD dst_unused:UNUSED_PAD src0_sel:WORD_1 src1_sel:DWORD
	v_mul_f16_sdwa v43, v2, v41 dst_sel:DWORD dst_unused:UNUSED_PAD src0_sel:WORD_1 src1_sel:DWORD
	v_fma_f16 v44, v7, v11, v44
	v_mul_f16_sdwa v11, v7, v11 dst_sel:DWORD dst_unused:UNUSED_PAD src0_sel:WORD_1 src1_sel:DWORD
	v_fma_f16 v43, v2, v20, v43
	v_fma_f16 v7, v7, v61, -v11
	v_mul_f16_sdwa v11, v2, v20 dst_sel:DWORD dst_unused:UNUSED_PAD src0_sel:WORD_1 src1_sel:DWORD
	v_sub_f16_e32 v53, v43, v44
	v_fma_f16 v2, v2, v41, -v11
	v_mul_f16_e32 v54, 0xb853, v53
	v_add_f16_e32 v11, v7, v2
	s_movk_i32 s7, 0x3abb
	v_fma_f16 v20, v11, s7, v54
	v_add_f16_e32 v19, v20, v19
	v_mul_f16_sdwa v20, v3, v39 dst_sel:DWORD dst_unused:UNUSED_PAD src0_sel:WORD_1 src1_sel:DWORD
	v_mul_f16_sdwa v41, v6, v42 dst_sel:DWORD dst_unused:UNUSED_PAD src0_sel:WORD_1 src1_sel:DWORD
	v_fma_f16 v20, v3, v15, v20
	v_fma_f16 v41, v6, v18, v41
	v_mul_f16_sdwa v18, v6, v18 dst_sel:DWORD dst_unused:UNUSED_PAD src0_sel:WORD_1 src1_sel:DWORD
	v_mul_f16_sdwa v15, v3, v15 dst_sel:DWORD dst_unused:UNUSED_PAD src0_sel:WORD_1 src1_sel:DWORD
	v_sub_f16_e32 v55, v20, v41
	v_fma_f16 v6, v6, v42, -v18
	v_fma_f16 v3, v3, v39, -v15
	v_mul_f16_e32 v61, 0xb482, v55
	v_add_f16_e32 v15, v6, v3
	s_mov_b32 s14, 0xbbad
	v_fma_f16 v18, v15, s14, v61
	v_add_f16_e32 v18, v18, v19
	v_mul_f16_sdwa v19, v4, v38 dst_sel:DWORD dst_unused:UNUSED_PAD src0_sel:WORD_1 src1_sel:DWORD
	v_mul_f16_sdwa v39, v5, v40 dst_sel:DWORD dst_unused:UNUSED_PAD src0_sel:WORD_1 src1_sel:DWORD
	v_fma_f16 v19, v4, v16, v19
	v_fma_f16 v39, v5, v17, v39
	v_mul_f16_sdwa v17, v5, v17 dst_sel:DWORD dst_unused:UNUSED_PAD src0_sel:WORD_1 src1_sel:DWORD
	v_mul_f16_sdwa v16, v4, v16 dst_sel:DWORD dst_unused:UNUSED_PAD src0_sel:WORD_1 src1_sel:DWORD
	v_sub_f16_e32 v42, v19, v39
	v_fma_f16 v5, v5, v40, -v17
	v_fma_f16 v4, v4, v38, -v16
	v_mul_f16_e32 v62, 0x3b47, v42
	v_add_f16_e32 v16, v5, v4
	s_movk_i32 s16, 0x36a6
	v_fma_f16 v17, v16, s16, v62
	v_sub_f16_e32 v38, v0, v10
	v_add_f16_e32 v17, v17, v18
	v_add_f16_e32 v18, v46, v45
	v_mul_f16_e32 v40, 0xba0c, v38
	v_sub_f16_e32 v65, v1, v9
	v_fma_f16 v63, v18, s2, -v40
	v_add_f16_e32 v64, v50, v49
	v_mul_f16_e32 v66, 0x3beb, v65
	v_add_f16_e32 v63, v13, v63
	v_fma_f16 v67, v64, s6, -v66
	v_sub_f16_e32 v68, v2, v7
	v_add_f16_e32 v63, v67, v63
	v_add_f16_e32 v67, v44, v43
	v_mul_f16_e32 v69, 0xb853, v68
	v_fma_f16 v70, v67, s7, -v69
	v_sub_f16_e32 v71, v3, v6
	v_add_f16_e32 v63, v70, v63
	v_add_f16_e32 v70, v41, v20
	v_mul_f16_e32 v72, 0xb482, v71
	;; [unrolled: 5-line block ×3, first 2 shown]
	v_fma_f16 v76, v73, s16, -v75
	v_fma_f16 v48, v14, s2, -v48
	v_add_f16_e32 v63, v76, v63
	v_mul_f16_e32 v76, 0xb482, v47
	v_add_f16_e32 v48, v37, v48
	v_fma_f16 v52, v12, s6, -v52
	v_fma_f16 v77, v14, s14, v76
	v_mul_f16_e32 v78, 0x3853, v51
	v_add_f16_e32 v48, v52, v48
	v_fma_f16 v52, v11, s7, -v54
	v_add_f16_e32 v77, v37, v77
	v_fma_f16 v79, v12, s7, v78
	v_add_f16_e32 v48, v52, v48
	v_fma_f16 v52, v15, s14, -v61
	v_add_f16_e32 v77, v79, v77
	v_mul_f16_e32 v79, 0xba0c, v53
	v_add_f16_e32 v48, v52, v48
	v_fma_f16 v52, v16, s16, -v62
	v_fma_f16 v40, v18, s2, v40
	v_fma_f16 v80, v11, s2, v79
	v_add_f16_e32 v48, v52, v48
	v_add_f16_e32 v40, v13, v40
	v_fma_f16 v52, v64, s6, v66
	v_add_f16_e32 v77, v80, v77
	v_mul_f16_e32 v80, 0x3b47, v55
	v_add_f16_e32 v40, v52, v40
	v_fma_f16 v52, v67, s7, v69
	v_fma_f16 v81, v15, s16, v80
	v_add_f16_e32 v40, v52, v40
	v_fma_f16 v52, v70, s14, v72
	v_add_f16_e32 v77, v81, v77
	v_mul_f16_e32 v81, 0xbbeb, v42
	v_add_f16_e32 v40, v52, v40
	v_fma_f16 v52, v73, s16, v75
	s_movk_i32 s12, 0x3beb
	v_fma_f16 v82, v16, s6, v81
	v_fma_f16 v76, v14, s14, -v76
	v_add_f16_e32 v40, v52, v40
	v_mul_f16_e32 v52, 0xb08e, v14
	s_mov_b32 s15, 0xb482
	v_add_f16_e32 v77, v82, v77
	v_mul_f16_e32 v82, 0xb482, v38
	v_add_f16_e32 v76, v37, v76
	v_fma_f16 v78, v12, s7, -v78
	v_fma_f16 v54, v47, s12, v52
	v_mul_f16_e32 v61, 0xbbad, v12
	v_fma_f16 v83, v18, s14, -v82
	v_mul_f16_e32 v84, 0x3853, v65
	v_add_f16_e32 v76, v78, v76
	v_fma_f16 v78, v11, s2, -v79
	v_add_f16_e32 v54, v37, v54
	v_fma_f16 v62, v51, s15, v61
	v_add_f16_e32 v83, v13, v83
	v_fma_f16 v85, v64, s7, -v84
	v_add_f16_e32 v76, v78, v76
	v_fma_f16 v78, v15, s16, -v80
	v_add_f16_e32 v54, v62, v54
	v_mul_f16_e32 v62, 0x36a6, v11
	s_mov_b32 s20, 0xbb47
	v_add_f16_e32 v83, v85, v83
	v_mul_f16_e32 v85, 0xba0c, v68
	v_add_f16_e32 v76, v78, v76
	v_fma_f16 v78, v16, s6, -v81
	v_fma_f16 v66, v53, s20, v62
	s_movk_i32 s19, 0x3853
	v_fma_f16 v86, v67, s2, -v85
	v_add_f16_e32 v76, v78, v76
	v_fma_f16 v78, v18, s14, v82
	v_add_f16_e32 v54, v66, v54
	v_mul_f16_e32 v66, 0x3abb, v15
	v_add_f16_e32 v83, v86, v83
	v_mul_f16_e32 v86, 0x3b47, v71
	v_add_f16_e32 v78, v13, v78
	v_fma_f16 v79, v64, s7, v84
	v_fma_f16 v69, v55, s19, v66
	v_fma_f16 v87, v70, s16, -v86
	v_add_f16_e32 v78, v79, v78
	v_fma_f16 v79, v67, s2, v85
	v_add_f16_e32 v54, v69, v54
	v_mul_f16_e32 v69, 0xb93d, v16
	s_movk_i32 s21, 0x3a0c
	v_add_f16_e32 v83, v87, v83
	v_mul_f16_e32 v87, 0xbbeb, v74
	v_add_f16_e32 v78, v79, v78
	v_fma_f16 v79, v70, s16, v86
	v_fma_f16 v72, v42, s21, v69
	v_add_f16_e32 v78, v79, v78
	v_fma_f16 v79, v73, s6, v87
	v_add_f16_e32 v54, v72, v54
	v_mul_f16_e32 v72, 0xbbeb, v38
	v_add_f16_e32 v78, v79, v78
	v_fma_f16 v75, v18, s6, v72
	v_mul_f16_e32 v79, 0x3482, v65
	v_add_f16_e32 v75, v13, v75
	v_fma_f16 v80, v64, s14, v79
	v_add_f16_e32 v75, v80, v75
	v_mul_f16_e32 v80, 0x3b47, v68
	v_fma_f16 v81, v67, s16, v80
	v_add_f16_e32 v75, v81, v75
	v_mul_f16_e32 v81, 0xb853, v71
	s_mov_b32 s18, 0xbbeb
	v_fma_f16 v82, v70, s7, v81
	v_add_f16_e32 v0, v0, v37
	s_movk_i32 s22, 0x3482
	v_add_f16_e32 v75, v82, v75
	v_mul_f16_e32 v82, 0xba0c, v74
	v_add_f16_e32 v0, v1, v0
	v_fma_f16 v1, v47, s18, v52
	s_movk_i32 s17, 0x3b47
	v_fma_f16 v84, v73, s2, v82
	v_add_f16_e32 v0, v2, v0
	v_add_f16_e32 v1, v37, v1
	v_fma_f16 v2, v51, s22, v61
	s_mov_b32 s13, 0xb853
	v_add_f16_e32 v75, v84, v75
	v_mul_f16_e32 v84, 0x36a6, v14
	v_add_f16_e32 v1, v2, v1
	v_fma_f16 v2, v53, s17, v62
	s_mov_b32 s3, 0xba0c
	v_fma_f16 v85, v47, s17, v84
	v_mul_f16_e32 v86, 0xb93d, v12
	v_add_f16_e32 v1, v2, v1
	v_fma_f16 v2, v55, s13, v66
	v_fma_f16 v88, v73, s6, -v87
	v_add_f16_e32 v85, v37, v85
	v_fma_f16 v87, v51, s21, v86
	v_add_f16_e32 v1, v2, v1
	v_fma_f16 v2, v42, s3, v69
	v_add_f16_e32 v85, v87, v85
	v_mul_f16_e32 v87, 0xbbad, v11
	v_add_f16_e32 v1, v2, v1
	v_fma_f16 v2, v18, s6, -v72
	v_add_f16_e32 v83, v88, v83
	v_fma_f16 v88, v53, s15, v87
	v_add_f16_e32 v0, v3, v0
	v_add_f16_e32 v2, v13, v2
	v_fma_f16 v3, v64, s14, -v79
	v_add_f16_e32 v85, v88, v85
	v_mul_f16_e32 v88, 0xb08e, v15
	v_add_f16_e32 v2, v3, v2
	v_fma_f16 v3, v67, s16, -v80
	v_fma_f16 v89, v55, s18, v88
	v_add_f16_e32 v2, v3, v2
	v_fma_f16 v3, v70, s7, -v81
	v_add_f16_e32 v85, v89, v85
	v_mul_f16_e32 v89, 0x3abb, v16
	v_add_f16_e32 v2, v3, v2
	v_fma_f16 v3, v73, s2, -v82
	v_fma_f16 v90, v42, s13, v89
	v_add_f16_e32 v2, v3, v2
	v_fma_f16 v3, v47, s20, v84
	v_add_f16_e32 v85, v90, v85
	v_mul_f16_e32 v90, 0xbb47, v38
	v_add_f16_e32 v0, v4, v0
	v_add_f16_e32 v3, v37, v3
	v_fma_f16 v4, v51, s3, v86
	v_fma_f16 v91, v18, s16, v90
	v_mul_f16_e32 v92, 0xba0c, v65
	v_add_f16_e32 v3, v4, v3
	v_fma_f16 v4, v53, s22, v87
	v_add_f16_e32 v91, v13, v91
	v_fma_f16 v93, v64, s2, v92
	;; [unrolled: 2-line block ×3, first 2 shown]
	v_add_f16_e32 v91, v93, v91
	v_mul_f16_e32 v93, 0x3482, v68
	v_add_f16_e32 v3, v4, v3
	v_fma_f16 v4, v42, s19, v89
	v_fma_f16 v94, v67, s14, v93
	v_add_f16_e32 v3, v4, v3
	v_fma_f16 v4, v18, s16, -v90
	v_add_f16_e32 v91, v94, v91
	v_mul_f16_e32 v94, 0x3beb, v71
	v_add_f16_e32 v0, v5, v0
	v_add_f16_e32 v4, v13, v4
	v_fma_f16 v5, v64, s2, -v92
	v_fma_f16 v95, v70, s6, v94
	v_add_f16_e32 v4, v5, v4
	v_fma_f16 v5, v67, s14, -v93
	v_add_f16_e32 v91, v95, v91
	v_mul_f16_e32 v95, 0x3853, v74
	v_add_f16_e32 v4, v5, v4
	v_fma_f16 v5, v70, s6, -v94
	v_mul_f16_e32 v14, 0x3abb, v14
	v_add_f16_e32 v4, v5, v4
	v_fma_f16 v5, v73, s7, -v95
	v_fma_f16 v96, v73, s7, v95
	v_mul_f16_e32 v12, 0x36a6, v12
	v_add_f16_e32 v4, v5, v4
	v_fma_f16 v5, v47, s13, v14
	v_add_f16_e32 v91, v96, v91
	v_fma_f16 v96, v47, s19, v14
	v_mul_f16_e32 v11, 0xb08e, v11
	v_add_f16_e32 v0, v6, v0
	v_add_f16_e32 v5, v37, v5
	v_fma_f16 v6, v51, s20, v12
	v_add_f16_e32 v96, v37, v96
	v_fma_f16 v97, v51, s17, v12
	v_mul_f16_e32 v15, 0xb93d, v15
	v_add_f16_e32 v45, v13, v45
	v_add_f16_e32 v5, v6, v5
	v_fma_f16 v6, v53, s18, v11
	v_add_f16_e32 v96, v97, v96
	v_fma_f16 v97, v53, s12, v11
	v_mul_f16_e32 v16, 0xbbad, v16
	v_add_f16_e32 v45, v49, v45
	v_add_f16_e32 v5, v6, v5
	v_fma_f16 v6, v55, s3, v15
	v_add_f16_e32 v96, v97, v96
	v_fma_f16 v97, v55, s21, v15
	v_mul_f16_e32 v38, 0xb853, v38
	v_add_f16_e32 v43, v43, v45
	v_add_f16_e32 v5, v6, v5
	v_fma_f16 v6, v42, s15, v16
	v_add_f16_e32 v96, v97, v96
	v_fma_f16 v97, v42, s22, v16
	v_mul_f16_e32 v65, 0xbb47, v65
	v_add_f16_e32 v20, v20, v43
	v_add_f16_e32 v5, v6, v5
	v_fma_f16 v6, v18, s7, -v38
	v_add_f16_e32 v96, v97, v96
	v_fma_f16 v97, v18, s7, v38
	v_mul_f16_e32 v68, 0xbbeb, v68
	v_add_f16_e32 v19, v19, v20
	v_add_f16_e32 v0, v7, v0
	;; [unrolled: 1-line block ×3, first 2 shown]
	v_fma_f16 v7, v64, s16, -v65
	v_add_f16_e32 v97, v13, v97
	v_fma_f16 v98, v64, s16, v65
	v_mul_f16_e32 v71, 0xba0c, v71
	v_add_f16_e32 v19, v39, v19
	v_add_f16_e32 v6, v7, v6
	v_fma_f16 v7, v67, s6, -v68
	v_add_f16_e32 v97, v98, v97
	v_fma_f16 v98, v67, s6, v68
	v_mul_f16_e32 v74, 0xb482, v74
	v_add_f16_e32 v19, v41, v19
	v_add_f16_e32 v6, v7, v6
	v_fma_f16 v7, v70, s2, -v71
	v_add_f16_e32 v97, v98, v97
	v_fma_f16 v98, v70, s2, v71
	v_add_f16_e32 v19, v44, v19
	v_add_f16_e32 v6, v7, v6
	v_fma_f16 v7, v73, s14, -v74
	v_add_f16_e32 v97, v98, v97
	v_fma_f16 v98, v73, s14, v74
	v_add_f16_e32 v19, v50, v19
	v_add_f16_e32 v0, v9, v0
	;; [unrolled: 1-line block ×3, first 2 shown]
	v_mul_u32_u24_e32 v7, 0xb0, v21
	v_add_f16_e32 v97, v98, v97
	v_add_f16_e32 v19, v46, v19
	;; [unrolled: 1-line block ×3, first 2 shown]
	v_or_b32_e32 v7, v7, v35
	v_lshl_add_u32 v7, v7, 2, v33
	v_pack_b32_f16 v0, v19, v0
	v_pack_b32_f16 v9, v97, v96
	ds_write2_b32 v7, v0, v9 offset1:16
	v_pack_b32_f16 v0, v91, v85
	v_pack_b32_f16 v9, v75, v54
	ds_write2_b32 v7, v0, v9 offset0:32 offset1:48
	v_pack_b32_f16 v0, v40, v48
	v_pack_b32_f16 v9, v78, v76
	ds_write2_b32 v7, v0, v9 offset0:64 offset1:80
	;; [unrolled: 3-line block ×4, first 2 shown]
	v_pack_b32_f16 v0, v6, v5
	ds_write_b32 v7, v0 offset:640
.LBB0_9:
	s_or_b64 exec, exec, s[0:1]
	v_add_u32_e32 v13, 0x400, v32
	s_waitcnt lgkmcnt(0)
	s_barrier
	ds_read2_b32 v[5:6], v13 offset0:96 offset1:184
	v_add_u32_e32 v1, 0x800, v32
	ds_read2_b32 v[11:12], v1 offset0:16 offset1:104
	ds_read2_b32 v[3:4], v32 offset1:88
	v_add_u32_e32 v2, 0x200, v32
	s_waitcnt lgkmcnt(2)
	v_lshrrev_b32_e32 v7, 16, v5
	v_mul_f16_sdwa v20, v22, v7 dst_sel:DWORD dst_unused:UNUSED_PAD src0_sel:WORD_1 src1_sel:DWORD
	v_lshrrev_b32_e32 v15, 16, v6
	v_fma_f16 v20, v22, v5, v20
	v_mul_f16_sdwa v5, v22, v5 dst_sel:DWORD dst_unused:UNUSED_PAD src0_sel:WORD_1 src1_sel:DWORD
	v_fma_f16 v5, v22, v7, -v5
	v_mul_f16_sdwa v7, v56, v15 dst_sel:DWORD dst_unused:UNUSED_PAD src0_sel:WORD_1 src1_sel:DWORD
	s_waitcnt lgkmcnt(1)
	v_lshrrev_b32_e32 v17, 16, v11
	v_fma_f16 v7, v56, v6, v7
	v_mul_f16_sdwa v6, v56, v6 dst_sel:DWORD dst_unused:UNUSED_PAD src0_sel:WORD_1 src1_sel:DWORD
	ds_read2_b32 v[9:10], v2 offset0:48 offset1:136
	v_fma_f16 v6, v56, v15, -v6
	v_mul_f16_sdwa v15, v22, v17 dst_sel:DWORD dst_unused:UNUSED_PAD src0_sel:WORD_1 src1_sel:DWORD
	v_lshrrev_b32_e32 v19, 16, v12
	v_fma_f16 v15, v22, v11, v15
	v_mul_f16_sdwa v11, v22, v11 dst_sel:DWORD dst_unused:UNUSED_PAD src0_sel:WORD_1 src1_sel:DWORD
	v_fma_f16 v11, v22, v17, -v11
	v_mul_f16_sdwa v17, v56, v19 dst_sel:DWORD dst_unused:UNUSED_PAD src0_sel:WORD_1 src1_sel:DWORD
	s_waitcnt lgkmcnt(1)
	v_lshrrev_b32_e32 v0, 16, v3
	v_lshrrev_b32_e32 v14, 16, v4
	v_fma_f16 v17, v56, v12, v17
	v_mul_f16_sdwa v12, v56, v12 dst_sel:DWORD dst_unused:UNUSED_PAD src0_sel:WORD_1 src1_sel:DWORD
	v_fma_f16 v12, v56, v19, -v12
	v_sub_f16_e32 v19, v3, v20
	v_sub_f16_e32 v5, v0, v5
	;; [unrolled: 1-line block ×4, first 2 shown]
	s_waitcnt lgkmcnt(0)
	v_lshrrev_b32_e32 v16, 16, v9
	v_lshrrev_b32_e32 v18, 16, v10
	v_fma_f16 v3, v3, 2.0, -v19
	v_fma_f16 v0, v0, 2.0, -v5
	;; [unrolled: 1-line block ×4, first 2 shown]
	v_sub_f16_e32 v15, v9, v15
	v_sub_f16_e32 v11, v16, v11
	;; [unrolled: 1-line block ×4, first 2 shown]
	v_pack_b32_f16 v0, v3, v0
	v_pack_b32_f16 v4, v4, v14
	v_fma_f16 v9, v9, 2.0, -v15
	v_fma_f16 v16, v16, 2.0, -v11
	;; [unrolled: 1-line block ×4, first 2 shown]
	s_barrier
	v_pack_b32_f16 v3, v19, v5
	ds_write2_b32 v32, v0, v4 offset1:88
	v_pack_b32_f16 v0, v7, v6
	ds_write2_b32 v2, v3, v0 offset0:48 offset1:136
	v_pack_b32_f16 v0, v9, v16
	v_pack_b32_f16 v4, v10, v18
	v_pack_b32_f16 v3, v15, v11
	ds_write2_b32 v13, v0, v4 offset0:96 offset1:184
	v_pack_b32_f16 v0, v17, v12
	ds_write2_b32 v1, v3, v0 offset0:16 offset1:104
	s_waitcnt lgkmcnt(0)
	s_barrier
	ds_read2_b32 v[3:4], v32 offset1:88
	ds_read2_b32 v[5:6], v13 offset0:96 offset1:184
	ds_read2_b32 v[9:10], v2 offset0:48 offset1:136
	;; [unrolled: 1-line block ×3, first 2 shown]
	s_mov_b32 s2, 0x745d1746
	s_mov_b32 s3, 0x3f5745d1
	s_waitcnt lgkmcnt(3)
	v_lshrrev_b32_e32 v0, 16, v3
	s_waitcnt lgkmcnt(2)
	v_lshrrev_b32_e32 v7, 16, v5
	v_mul_f16_sdwa v20, v57, v7 dst_sel:DWORD dst_unused:UNUSED_PAD src0_sel:WORD_1 src1_sel:DWORD
	v_lshrrev_b32_e32 v15, 16, v6
	v_fma_f16 v20, v57, v5, v20
	v_mul_f16_sdwa v5, v57, v5 dst_sel:DWORD dst_unused:UNUSED_PAD src0_sel:WORD_1 src1_sel:DWORD
	v_fma_f16 v5, v57, v7, -v5
	v_mul_f16_sdwa v7, v58, v15 dst_sel:DWORD dst_unused:UNUSED_PAD src0_sel:WORD_1 src1_sel:DWORD
	s_waitcnt lgkmcnt(0)
	v_lshrrev_b32_e32 v17, 16, v11
	v_fma_f16 v7, v58, v6, v7
	v_mul_f16_sdwa v6, v58, v6 dst_sel:DWORD dst_unused:UNUSED_PAD src0_sel:WORD_1 src1_sel:DWORD
	v_fma_f16 v6, v58, v15, -v6
	v_mul_f16_sdwa v15, v59, v17 dst_sel:DWORD dst_unused:UNUSED_PAD src0_sel:WORD_1 src1_sel:DWORD
	v_lshrrev_b32_e32 v19, 16, v12
	v_fma_f16 v15, v59, v11, v15
	v_mul_f16_sdwa v11, v59, v11 dst_sel:DWORD dst_unused:UNUSED_PAD src0_sel:WORD_1 src1_sel:DWORD
	v_fma_f16 v11, v59, v17, -v11
	v_mul_f16_sdwa v17, v60, v19 dst_sel:DWORD dst_unused:UNUSED_PAD src0_sel:WORD_1 src1_sel:DWORD
	v_lshrrev_b32_e32 v14, 16, v4
	v_fma_f16 v17, v60, v12, v17
	v_mul_f16_sdwa v12, v60, v12 dst_sel:DWORD dst_unused:UNUSED_PAD src0_sel:WORD_1 src1_sel:DWORD
	v_fma_f16 v12, v60, v19, -v12
	v_sub_f16_e32 v19, v3, v20
	v_sub_f16_e32 v5, v0, v5
	;; [unrolled: 1-line block ×4, first 2 shown]
	v_fma_f16 v3, v3, 2.0, -v19
	v_fma_f16 v0, v0, 2.0, -v5
	;; [unrolled: 1-line block ×4, first 2 shown]
	v_lshrrev_b32_e32 v16, 16, v9
	v_lshrrev_b32_e32 v18, 16, v10
	v_pack_b32_f16 v0, v3, v0
	v_pack_b32_f16 v4, v4, v14
	v_sub_f16_e32 v15, v9, v15
	v_sub_f16_e32 v11, v16, v11
	;; [unrolled: 1-line block ×4, first 2 shown]
	v_pack_b32_f16 v3, v19, v5
	ds_write2_b32 v32, v0, v4 offset1:88
	v_pack_b32_f16 v0, v7, v6
	v_fma_f16 v9, v9, 2.0, -v15
	v_fma_f16 v16, v16, 2.0, -v11
	;; [unrolled: 1-line block ×4, first 2 shown]
	ds_write2_b32 v13, v3, v0 offset0:96 offset1:184
	v_pack_b32_f16 v3, v15, v11
	v_pack_b32_f16 v0, v9, v16
	ds_write_b32 v36, v3 offset:1408
	v_pack_b32_f16 v3, v10, v18
	ds_write2_b32 v2, v0, v3 offset0:48 offset1:136
	v_pack_b32_f16 v0, v17, v12
	ds_write_b32 v34, v0 offset:1408
	s_waitcnt lgkmcnt(0)
	s_barrier
	ds_read2_b32 v[3:4], v32 offset1:88
	v_mad_u64_u32 v[5:6], s[0:1], s10, v8, 0
	s_movk_i32 s6, 0x1ff
	s_movk_i32 s7, 0xffe
	s_waitcnt lgkmcnt(0)
	v_lshrrev_b32_e32 v11, 16, v3
	v_mul_f16_sdwa v0, v31, v11 dst_sel:DWORD dst_unused:UNUSED_PAD src0_sel:WORD_1 src1_sel:DWORD
	v_fma_f16 v0, v31, v3, v0
	v_cvt_f32_f16_e32 v0, v0
	v_mul_f16_sdwa v3, v31, v3 dst_sel:DWORD dst_unused:UNUSED_PAD src0_sel:WORD_1 src1_sel:DWORD
	v_fma_f16 v3, v31, v11, -v3
	v_cvt_f32_f16_e32 v3, v3
	v_cvt_f64_f32_e32 v[9:10], v0
	v_mov_b32_e32 v0, v6
	v_mad_u64_u32 v[6:7], s[0:1], s11, v8, v[0:1]
	v_mul_f64 v[9:10], v[9:10], s[2:3]
	s_movk_i32 s10, 0x40f
	s_mov_b32 s11, 0x8000
	v_lshlrev_b64 v[5:6], 2, v[5:6]
	v_and_or_b32 v0, v10, s6, v9
	v_cmp_ne_u32_e32 vcc, 0, v0
	v_cndmask_b32_e64 v0, 0, 1, vcc
	v_lshrrev_b32_e32 v7, 8, v10
	v_and_or_b32 v9, v7, s7, v0
	v_bfe_u32 v7, v10, 20, 11
	v_sub_u32_e32 v8, 0x3f1, v7
	v_or_b32_e32 v0, 0x1000, v9
	v_med3_i32 v8, v8, 0, 13
	v_lshrrev_b32_e32 v12, v8, v0
	v_lshlrev_b32_e32 v8, v8, v12
	v_cmp_ne_u32_e32 vcc, v8, v0
	v_cndmask_b32_e64 v0, 0, 1, vcc
	v_or_b32_e32 v0, v12, v0
	v_add_u32_e32 v12, 0xfffffc10, v7
	v_lshl_or_b32 v7, v12, 12, v9
	v_cmp_gt_i32_e32 vcc, 1, v12
	v_cndmask_b32_e32 v0, v7, v0, vcc
	v_and_b32_e32 v7, 7, v0
	v_cmp_lt_i32_e32 vcc, 5, v7
	v_cmp_eq_u32_e64 s[0:1], 3, v7
	v_cvt_f64_f32_e32 v[7:8], v3
	v_lshrrev_b32_e32 v0, 2, v0
	s_or_b64 vcc, s[0:1], vcc
	v_addc_co_u32_e32 v11, vcc, 0, v0, vcc
	v_mul_f64 v[7:8], v[7:8], s[2:3]
	v_mov_b32_e32 v0, 0x7c00
	v_cmp_gt_i32_e32 vcc, 31, v12
	v_cndmask_b32_e32 v3, v0, v11, vcc
	v_cmp_ne_u32_e32 vcc, 0, v9
	v_cndmask_b32_e64 v9, 0, 1, vcc
	v_lshl_or_b32 v9, v9, 9, v0
	v_cmp_eq_u32_e32 vcc, s10, v12
	v_cndmask_b32_e32 v3, v3, v9, vcc
	v_lshrrev_b32_e32 v9, 16, v10
	v_and_or_b32 v14, v9, s11, v3
	v_and_or_b32 v3, v8, s6, v7
	v_cmp_ne_u32_e32 vcc, 0, v3
	v_cndmask_b32_e64 v3, 0, 1, vcc
	v_lshrrev_b32_e32 v7, 8, v8
	v_bfe_u32 v9, v8, 20, 11
	v_and_or_b32 v3, v7, s7, v3
	v_sub_u32_e32 v10, 0x3f1, v9
	v_or_b32_e32 v7, 0x1000, v3
	v_med3_i32 v10, v10, 0, 13
	v_lshrrev_b32_e32 v11, v10, v7
	v_lshlrev_b32_e32 v10, v10, v11
	v_cmp_ne_u32_e32 vcc, v10, v7
	v_cndmask_b32_e64 v7, 0, 1, vcc
	v_or_b32_e32 v7, v11, v7
	v_add_u32_e32 v11, 0xfffffc10, v9
	v_lshl_or_b32 v9, v11, 12, v3
	v_cmp_gt_i32_e32 vcc, 1, v11
	v_cndmask_b32_e32 v7, v9, v7, vcc
	v_and_b32_e32 v9, 7, v7
	v_cmp_lt_i32_e32 vcc, 5, v9
	v_cmp_eq_u32_e64 s[0:1], 3, v9
	v_lshrrev_b32_e32 v7, 2, v7
	s_or_b64 vcc, s[0:1], vcc
	v_addc_co_u32_e32 v7, vcc, 0, v7, vcc
	v_cmp_gt_i32_e32 vcc, 31, v11
	v_cndmask_b32_e32 v7, v0, v7, vcc
	v_cmp_ne_u32_e32 vcc, 0, v3
	v_cndmask_b32_e64 v3, 0, 1, vcc
	v_mad_u64_u32 v[9:10], s[0:1], s8, v30, 0
	v_cmp_eq_u32_e32 vcc, s10, v11
	ds_read2_b32 v[11:12], v13 offset0:96 offset1:184
	v_lshl_or_b32 v3, v3, 9, v0
	v_cndmask_b32_e32 v15, v7, v3, vcc
	v_mov_b32_e32 v3, v10
	v_lshrrev_b32_e32 v13, 16, v8
	v_mad_u64_u32 v[7:8], s[0:1], s9, v30, v[3:4]
	s_waitcnt lgkmcnt(0)
	v_lshrrev_b32_e32 v3, 16, v11
	v_mul_f16_sdwa v8, v29, v3 dst_sel:DWORD dst_unused:UNUSED_PAD src0_sel:WORD_1 src1_sel:DWORD
	v_fma_f16 v8, v29, v11, v8
	v_cvt_f32_f16_e32 v8, v8
	v_mov_b32_e32 v10, v7
	v_and_or_b32 v13, v13, s11, v15
	v_and_b32_e32 v14, 0xffff, v14
	v_cvt_f64_f32_e32 v[7:8], v8
	v_lshl_or_b32 v13, v13, 16, v14
	v_mov_b32_e32 v14, s5
	v_add_co_u32_e32 v15, vcc, s4, v5
	v_mul_f64 v[7:8], v[7:8], s[2:3]
	v_addc_co_u32_e32 v14, vcc, v14, v6, vcc
	v_lshlrev_b64 v[5:6], 2, v[9:10]
	v_mul_f16_sdwa v11, v29, v11 dst_sel:DWORD dst_unused:UNUSED_PAD src0_sel:WORD_1 src1_sel:DWORD
	v_add_co_u32_e32 v5, vcc, v15, v5
	v_addc_co_u32_e32 v6, vcc, v14, v6, vcc
	v_and_or_b32 v7, v8, s6, v7
	v_cmp_ne_u32_e32 vcc, 0, v7
	v_cndmask_b32_e64 v7, 0, 1, vcc
	v_lshrrev_b32_e32 v9, 8, v8
	v_bfe_u32 v10, v8, 20, 11
	global_store_dword v[5:6], v13, off
	v_and_or_b32 v7, v9, s7, v7
	v_sub_u32_e32 v13, 0x3f1, v10
	v_or_b32_e32 v9, 0x1000, v7
	v_med3_i32 v13, v13, 0, 13
	v_lshrrev_b32_e32 v14, v13, v9
	v_lshlrev_b32_e32 v13, v13, v14
	v_cmp_ne_u32_e32 vcc, v13, v9
	v_fma_f16 v3, v29, v3, -v11
	v_cndmask_b32_e64 v9, 0, 1, vcc
	v_add_u32_e32 v13, 0xfffffc10, v10
	v_cvt_f32_f16_e32 v3, v3
	v_or_b32_e32 v9, v14, v9
	v_lshl_or_b32 v10, v13, 12, v7
	v_cmp_gt_i32_e32 vcc, 1, v13
	v_cndmask_b32_e32 v9, v10, v9, vcc
	v_and_b32_e32 v10, 7, v9
	v_cmp_lt_i32_e32 vcc, 5, v10
	v_cmp_eq_u32_e64 s[0:1], 3, v10
	v_lshrrev_b32_e32 v11, 2, v9
	v_cvt_f64_f32_e32 v[9:10], v3
	s_or_b64 vcc, s[0:1], vcc
	v_addc_co_u32_e32 v3, vcc, 0, v11, vcc
	v_mul_f64 v[9:10], v[9:10], s[2:3]
	v_cmp_gt_i32_e32 vcc, 31, v13
	v_cndmask_b32_e32 v3, v0, v3, vcc
	v_cmp_ne_u32_e32 vcc, 0, v7
	v_cndmask_b32_e64 v7, 0, 1, vcc
	v_lshl_or_b32 v7, v7, 9, v0
	v_cmp_eq_u32_e32 vcc, s10, v13
	v_cndmask_b32_e32 v3, v3, v7, vcc
	v_lshrrev_b32_e32 v7, 16, v8
	v_and_or_b32 v3, v7, s11, v3
	v_and_or_b32 v7, v10, s6, v9
	v_cmp_ne_u32_e32 vcc, 0, v7
	v_cndmask_b32_e64 v7, 0, 1, vcc
	v_lshrrev_b32_e32 v8, 8, v10
	v_bfe_u32 v9, v10, 20, 11
	v_and_or_b32 v7, v8, s7, v7
	v_sub_u32_e32 v11, 0x3f1, v9
	v_or_b32_e32 v8, 0x1000, v7
	v_med3_i32 v11, v11, 0, 13
	v_lshrrev_b32_e32 v13, v11, v8
	v_lshlrev_b32_e32 v11, v11, v13
	v_cmp_ne_u32_e32 vcc, v11, v8
	v_cndmask_b32_e64 v8, 0, 1, vcc
	v_add_u32_e32 v9, 0xfffffc10, v9
	v_or_b32_e32 v8, v13, v8
	v_lshl_or_b32 v11, v9, 12, v7
	v_cmp_gt_i32_e32 vcc, 1, v9
	v_cndmask_b32_e32 v8, v11, v8, vcc
	v_and_b32_e32 v11, 7, v8
	v_cmp_lt_i32_e32 vcc, 5, v11
	v_cmp_eq_u32_e64 s[0:1], 3, v11
	v_lshrrev_b32_e32 v8, 2, v8
	s_or_b64 vcc, s[0:1], vcc
	v_addc_co_u32_e32 v8, vcc, 0, v8, vcc
	v_cmp_gt_i32_e32 vcc, 31, v9
	v_cndmask_b32_e32 v8, v0, v8, vcc
	v_cmp_ne_u32_e32 vcc, 0, v7
	v_cndmask_b32_e64 v7, 0, 1, vcc
	v_lshl_or_b32 v7, v7, 9, v0
	v_cmp_eq_u32_e32 vcc, s10, v9
	v_lshrrev_b32_e32 v9, 16, v4
	v_cndmask_b32_e32 v7, v8, v7, vcc
	v_lshrrev_b32_e32 v8, 16, v10
	v_mul_f16_sdwa v10, v28, v9 dst_sel:DWORD dst_unused:UNUSED_PAD src0_sel:WORD_1 src1_sel:DWORD
	v_fma_f16 v10, v28, v4, v10
	v_cvt_f32_f16_e32 v10, v10
	v_and_or_b32 v7, v8, s11, v7
	v_and_b32_e32 v3, 0xffff, v3
	v_lshl_or_b32 v3, v7, 16, v3
	v_cvt_f64_f32_e32 v[7:8], v10
	s_mul_i32 s0, s9, 0x580
	s_mul_hi_u32 s4, s8, 0x580
	s_add_i32 s4, s4, s0
	v_mul_f64 v[7:8], v[7:8], s[2:3]
	s_mul_i32 s5, s8, 0x580
	v_mov_b32_e32 v10, s4
	v_add_co_u32_e32 v5, vcc, s5, v5
	v_addc_co_u32_e32 v6, vcc, v6, v10, vcc
	global_store_dword v[5:6], v3, off
	v_and_or_b32 v3, v8, s6, v7
	v_cmp_ne_u32_e32 vcc, 0, v3
	v_cndmask_b32_e64 v3, 0, 1, vcc
	v_lshrrev_b32_e32 v7, 8, v8
	v_bfe_u32 v10, v8, 20, 11
	v_and_or_b32 v7, v7, s7, v3
	v_sub_u32_e32 v11, 0x3f1, v10
	v_or_b32_e32 v3, 0x1000, v7
	v_med3_i32 v11, v11, 0, 13
	v_lshrrev_b32_e32 v13, v11, v3
	v_mul_f16_sdwa v4, v28, v4 dst_sel:DWORD dst_unused:UNUSED_PAD src0_sel:WORD_1 src1_sel:DWORD
	v_lshlrev_b32_e32 v11, v11, v13
	v_fma_f16 v4, v28, v9, -v4
	v_cmp_ne_u32_e32 vcc, v11, v3
	v_cvt_f32_f16_e32 v4, v4
	v_cndmask_b32_e64 v3, 0, 1, vcc
	v_add_u32_e32 v10, 0xfffffc10, v10
	v_or_b32_e32 v3, v13, v3
	v_lshl_or_b32 v11, v10, 12, v7
	v_cmp_gt_i32_e32 vcc, 1, v10
	v_cndmask_b32_e32 v3, v11, v3, vcc
	v_and_b32_e32 v11, 7, v3
	v_lshrrev_b32_e32 v9, 2, v3
	v_cvt_f64_f32_e32 v[3:4], v4
	v_cmp_lt_i32_e32 vcc, 5, v11
	v_cmp_eq_u32_e64 s[0:1], 3, v11
	s_or_b64 vcc, s[0:1], vcc
	v_mul_f64 v[3:4], v[3:4], s[2:3]
	v_addc_co_u32_e32 v9, vcc, 0, v9, vcc
	v_cmp_gt_i32_e32 vcc, 31, v10
	v_cndmask_b32_e32 v9, v0, v9, vcc
	v_cmp_ne_u32_e32 vcc, 0, v7
	v_cndmask_b32_e64 v7, 0, 1, vcc
	v_lshl_or_b32 v7, v7, 9, v0
	v_cmp_eq_u32_e32 vcc, s10, v10
	v_and_or_b32 v3, v4, s6, v3
	v_cndmask_b32_e32 v7, v9, v7, vcc
	v_lshrrev_b32_e32 v8, 16, v8
	v_cmp_ne_u32_e32 vcc, 0, v3
	v_and_or_b32 v7, v8, s11, v7
	v_cndmask_b32_e64 v3, 0, 1, vcc
	v_lshrrev_b32_e32 v8, 8, v4
	v_bfe_u32 v9, v4, 20, 11
	v_and_or_b32 v3, v8, s7, v3
	v_sub_u32_e32 v10, 0x3f1, v9
	v_or_b32_e32 v8, 0x1000, v3
	v_med3_i32 v10, v10, 0, 13
	v_lshrrev_b32_e32 v11, v10, v8
	v_lshlrev_b32_e32 v10, v10, v11
	v_cmp_ne_u32_e32 vcc, v10, v8
	v_cndmask_b32_e64 v8, 0, 1, vcc
	v_add_u32_e32 v9, 0xfffffc10, v9
	v_or_b32_e32 v8, v11, v8
	v_lshl_or_b32 v10, v9, 12, v3
	v_cmp_gt_i32_e32 vcc, 1, v9
	v_cndmask_b32_e32 v8, v10, v8, vcc
	v_and_b32_e32 v10, 7, v8
	v_cmp_lt_i32_e32 vcc, 5, v10
	v_cmp_eq_u32_e64 s[0:1], 3, v10
	v_lshrrev_b32_e32 v8, 2, v8
	s_or_b64 vcc, s[0:1], vcc
	v_addc_co_u32_e32 v8, vcc, 0, v8, vcc
	v_cmp_gt_i32_e32 vcc, 31, v9
	v_cndmask_b32_e32 v8, v0, v8, vcc
	v_cmp_ne_u32_e32 vcc, 0, v3
	v_cndmask_b32_e64 v3, 0, 1, vcc
	v_lshl_or_b32 v3, v3, 9, v0
	v_cmp_eq_u32_e32 vcc, s10, v9
	v_cndmask_b32_e32 v3, v8, v3, vcc
	v_lshrrev_b32_e32 v4, 16, v4
	v_lshrrev_b32_e32 v8, 16, v12
	v_and_or_b32 v3, v4, s11, v3
	v_mul_f16_sdwa v4, v27, v8 dst_sel:DWORD dst_unused:UNUSED_PAD src0_sel:WORD_1 src1_sel:DWORD
	v_fma_f16 v4, v27, v12, v4
	v_cvt_f32_f16_e32 v4, v4
	v_and_b32_e32 v7, 0xffff, v7
	v_lshl_or_b32 v7, v3, 16, v7
	s_mul_hi_u32 s1, s8, 0xfffffbe0
	v_cvt_f64_f32_e32 v[3:4], v4
	s_mul_i32 s0, s9, 0xfffffbe0
	s_sub_i32 s9, s1, s8
	s_add_i32 s9, s9, s0
	v_mul_f64 v[3:4], v[3:4], s[2:3]
	s_mulk_i32 s8, 0xfbe0
	v_mov_b32_e32 v9, s9
	v_add_co_u32_e32 v5, vcc, s8, v5
	v_addc_co_u32_e32 v6, vcc, v6, v9, vcc
	global_store_dword v[5:6], v7, off
	v_and_or_b32 v3, v4, s6, v3
	v_cmp_ne_u32_e32 vcc, 0, v3
	v_cndmask_b32_e64 v3, 0, 1, vcc
	v_lshrrev_b32_e32 v7, 8, v4
	v_bfe_u32 v9, v4, 20, 11
	v_and_or_b32 v3, v7, s7, v3
	v_sub_u32_e32 v10, 0x3f1, v9
	v_or_b32_e32 v7, 0x1000, v3
	v_med3_i32 v10, v10, 0, 13
	v_lshrrev_b32_e32 v11, v10, v7
	v_lshlrev_b32_e32 v10, v10, v11
	v_cmp_ne_u32_e32 vcc, v10, v7
	v_cndmask_b32_e64 v7, 0, 1, vcc
	v_or_b32_e32 v7, v11, v7
	v_mul_f16_sdwa v11, v27, v12 dst_sel:DWORD dst_unused:UNUSED_PAD src0_sel:WORD_1 src1_sel:DWORD
	v_fma_f16 v8, v27, v8, -v11
	v_add_u32_e32 v9, 0xfffffc10, v9
	v_cvt_f32_f16_e32 v8, v8
	v_lshl_or_b32 v10, v9, 12, v3
	v_cmp_gt_i32_e32 vcc, 1, v9
	v_cndmask_b32_e32 v7, v10, v7, vcc
	v_and_b32_e32 v10, 7, v7
	v_cmp_lt_i32_e32 vcc, 5, v10
	v_cmp_eq_u32_e64 s[0:1], 3, v10
	v_lshrrev_b32_e32 v10, 2, v7
	v_cvt_f64_f32_e32 v[7:8], v8
	s_or_b64 vcc, s[0:1], vcc
	v_addc_co_u32_e32 v10, vcc, 0, v10, vcc
	v_mul_f64 v[7:8], v[7:8], s[2:3]
	v_cmp_gt_i32_e32 vcc, 31, v9
	v_cndmask_b32_e32 v10, v0, v10, vcc
	v_cmp_ne_u32_e32 vcc, 0, v3
	v_cndmask_b32_e64 v3, 0, 1, vcc
	v_lshl_or_b32 v3, v3, 9, v0
	v_cmp_eq_u32_e32 vcc, s10, v9
	v_cndmask_b32_e32 v3, v10, v3, vcc
	v_lshrrev_b32_e32 v4, 16, v4
	v_and_or_b32 v4, v4, s11, v3
	v_and_or_b32 v3, v8, s6, v7
	v_cmp_ne_u32_e32 vcc, 0, v3
	v_cndmask_b32_e64 v3, 0, 1, vcc
	v_lshrrev_b32_e32 v7, 8, v8
	v_bfe_u32 v9, v8, 20, 11
	v_and_or_b32 v7, v7, s7, v3
	v_sub_u32_e32 v10, 0x3f1, v9
	v_or_b32_e32 v3, 0x1000, v7
	v_med3_i32 v10, v10, 0, 13
	v_lshrrev_b32_e32 v11, v10, v3
	v_lshlrev_b32_e32 v10, v10, v11
	v_cmp_ne_u32_e32 vcc, v10, v3
	v_cndmask_b32_e64 v3, 0, 1, vcc
	v_add_u32_e32 v9, 0xfffffc10, v9
	v_or_b32_e32 v3, v11, v3
	v_lshl_or_b32 v10, v9, 12, v7
	v_cmp_gt_i32_e32 vcc, 1, v9
	v_cndmask_b32_e32 v3, v10, v3, vcc
	v_and_b32_e32 v10, 7, v3
	v_cmp_lt_i32_e32 vcc, 5, v10
	v_cmp_eq_u32_e64 s[0:1], 3, v10
	v_lshrrev_b32_e32 v3, 2, v3
	s_or_b64 vcc, s[0:1], vcc
	v_addc_co_u32_e32 v10, vcc, 0, v3, vcc
	ds_read2_b32 v[2:3], v2 offset0:48 offset1:136
	v_cmp_gt_i32_e32 vcc, 31, v9
	v_cndmask_b32_e32 v10, v0, v10, vcc
	v_cmp_ne_u32_e32 vcc, 0, v7
	v_cndmask_b32_e64 v7, 0, 1, vcc
	s_waitcnt lgkmcnt(0)
	v_lshrrev_b32_e32 v11, 16, v2
	v_mul_f16_sdwa v12, v26, v11 dst_sel:DWORD dst_unused:UNUSED_PAD src0_sel:WORD_1 src1_sel:DWORD
	v_fma_f16 v12, v26, v2, v12
	v_cvt_f32_f16_e32 v12, v12
	v_lshl_or_b32 v7, v7, 9, v0
	v_cmp_eq_u32_e32 vcc, s10, v9
	v_cndmask_b32_e32 v7, v10, v7, vcc
	v_cvt_f64_f32_e32 v[9:10], v12
	v_lshrrev_b32_e32 v8, 16, v8
	v_and_or_b32 v12, v8, s11, v7
	v_and_b32_e32 v4, 0xffff, v4
	v_mul_f64 v[7:8], v[9:10], s[2:3]
	v_lshl_or_b32 v9, v12, 16, v4
	v_mov_b32_e32 v10, s4
	v_add_co_u32_e32 v4, vcc, s5, v5
	v_addc_co_u32_e32 v5, vcc, v6, v10, vcc
	global_store_dword v[4:5], v9, off
	v_and_or_b32 v6, v8, s6, v7
	v_cmp_ne_u32_e32 vcc, 0, v6
	v_cndmask_b32_e64 v6, 0, 1, vcc
	v_lshrrev_b32_e32 v7, 8, v8
	v_and_or_b32 v9, v7, s7, v6
	v_bfe_u32 v7, v8, 20, 11
	v_sub_u32_e32 v10, 0x3f1, v7
	v_or_b32_e32 v6, 0x1000, v9
	v_med3_i32 v10, v10, 0, 13
	v_lshrrev_b32_e32 v12, v10, v6
	v_lshlrev_b32_e32 v10, v10, v12
	v_mul_f16_sdwa v2, v26, v2 dst_sel:DWORD dst_unused:UNUSED_PAD src0_sel:WORD_1 src1_sel:DWORD
	v_cmp_ne_u32_e32 vcc, v10, v6
	v_fma_f16 v2, v26, v11, -v2
	v_cndmask_b32_e64 v6, 0, 1, vcc
	v_add_u32_e32 v10, 0xfffffc10, v7
	v_cvt_f32_f16_e32 v2, v2
	v_or_b32_e32 v6, v12, v6
	v_lshl_or_b32 v7, v10, 12, v9
	v_cmp_gt_i32_e32 vcc, 1, v10
	v_cndmask_b32_e32 v6, v7, v6, vcc
	v_and_b32_e32 v7, 7, v6
	v_cmp_lt_i32_e32 vcc, 5, v7
	v_cmp_eq_u32_e64 s[0:1], 3, v7
	v_lshrrev_b32_e32 v11, 2, v6
	v_cvt_f64_f32_e32 v[6:7], v2
	s_or_b64 vcc, s[0:1], vcc
	v_addc_co_u32_e32 v2, vcc, 0, v11, vcc
	v_mul_f64 v[6:7], v[6:7], s[2:3]
	v_cmp_gt_i32_e32 vcc, 31, v10
	v_cndmask_b32_e32 v2, v0, v2, vcc
	v_cmp_ne_u32_e32 vcc, 0, v9
	v_cndmask_b32_e64 v9, 0, 1, vcc
	v_lshl_or_b32 v9, v9, 9, v0
	v_cmp_eq_u32_e32 vcc, s10, v10
	v_cndmask_b32_e32 v2, v2, v9, vcc
	v_lshrrev_b32_e32 v8, 16, v8
	v_and_or_b32 v10, v8, s11, v2
	v_and_or_b32 v2, v7, s6, v6
	v_cmp_ne_u32_e32 vcc, 0, v2
	v_cndmask_b32_e64 v2, 0, 1, vcc
	v_lshrrev_b32_e32 v6, 8, v7
	v_bfe_u32 v8, v7, 20, 11
	v_and_or_b32 v6, v6, s7, v2
	v_sub_u32_e32 v9, 0x3f1, v8
	v_or_b32_e32 v2, 0x1000, v6
	v_med3_i32 v9, v9, 0, 13
	v_lshrrev_b32_e32 v11, v9, v2
	v_lshlrev_b32_e32 v9, v9, v11
	v_cmp_ne_u32_e32 vcc, v9, v2
	v_cndmask_b32_e64 v2, 0, 1, vcc
	v_add_u32_e32 v8, 0xfffffc10, v8
	v_or_b32_e32 v2, v11, v2
	v_lshl_or_b32 v9, v8, 12, v6
	v_cmp_gt_i32_e32 vcc, 1, v8
	v_cndmask_b32_e32 v2, v9, v2, vcc
	v_and_b32_e32 v9, 7, v2
	v_cmp_lt_i32_e32 vcc, 5, v9
	v_cmp_eq_u32_e64 s[0:1], 3, v9
	v_lshrrev_b32_e32 v2, 2, v2
	s_or_b64 vcc, s[0:1], vcc
	v_addc_co_u32_e32 v9, vcc, 0, v2, vcc
	ds_read2_b32 v[1:2], v1 offset0:16 offset1:104
	v_cmp_gt_i32_e32 vcc, 31, v8
	v_cndmask_b32_e32 v9, v0, v9, vcc
	v_cmp_ne_u32_e32 vcc, 0, v6
	v_cndmask_b32_e64 v6, 0, 1, vcc
	s_waitcnt lgkmcnt(0)
	v_lshrrev_b32_e32 v11, 16, v1
	v_mul_f16_sdwa v12, v25, v11 dst_sel:DWORD dst_unused:UNUSED_PAD src0_sel:WORD_1 src1_sel:DWORD
	v_fma_f16 v12, v25, v1, v12
	v_cvt_f32_f16_e32 v12, v12
	v_lshl_or_b32 v6, v6, 9, v0
	v_cmp_eq_u32_e32 vcc, s10, v8
	v_cndmask_b32_e32 v6, v9, v6, vcc
	v_cvt_f64_f32_e32 v[8:9], v12
	v_lshrrev_b32_e32 v7, 16, v7
	v_and_or_b32 v12, v7, s11, v6
	v_add_co_u32_e32 v4, vcc, s8, v4
	v_mul_f64 v[6:7], v[8:9], s[2:3]
	v_mov_b32_e32 v9, s9
	v_and_b32_e32 v10, 0xffff, v10
	v_addc_co_u32_e32 v5, vcc, v5, v9, vcc
	v_lshl_or_b32 v8, v12, 16, v10
	global_store_dword v[4:5], v8, off
	v_mul_f16_sdwa v1, v25, v1 dst_sel:DWORD dst_unused:UNUSED_PAD src0_sel:WORD_1 src1_sel:DWORD
	v_and_or_b32 v6, v7, s6, v6
	v_cmp_ne_u32_e32 vcc, 0, v6
	v_cndmask_b32_e64 v6, 0, 1, vcc
	v_lshrrev_b32_e32 v8, 8, v7
	v_bfe_u32 v9, v7, 20, 11
	v_and_or_b32 v6, v8, s7, v6
	v_sub_u32_e32 v10, 0x3f1, v9
	v_or_b32_e32 v8, 0x1000, v6
	v_med3_i32 v10, v10, 0, 13
	v_lshrrev_b32_e32 v12, v10, v8
	v_lshlrev_b32_e32 v10, v10, v12
	v_cmp_ne_u32_e32 vcc, v10, v8
	v_fma_f16 v1, v25, v11, -v1
	v_cndmask_b32_e64 v8, 0, 1, vcc
	v_add_u32_e32 v10, 0xfffffc10, v9
	v_cvt_f32_f16_e32 v1, v1
	v_or_b32_e32 v8, v12, v8
	v_lshl_or_b32 v9, v10, 12, v6
	v_cmp_gt_i32_e32 vcc, 1, v10
	v_cndmask_b32_e32 v8, v9, v8, vcc
	v_and_b32_e32 v9, 7, v8
	v_cmp_lt_i32_e32 vcc, 5, v9
	v_cmp_eq_u32_e64 s[0:1], 3, v9
	v_lshrrev_b32_e32 v11, 2, v8
	v_cvt_f64_f32_e32 v[8:9], v1
	s_or_b64 vcc, s[0:1], vcc
	v_addc_co_u32_e32 v1, vcc, 0, v11, vcc
	v_mul_f64 v[8:9], v[8:9], s[2:3]
	v_cmp_gt_i32_e32 vcc, 31, v10
	v_cndmask_b32_e32 v1, v0, v1, vcc
	v_cmp_ne_u32_e32 vcc, 0, v6
	v_cndmask_b32_e64 v6, 0, 1, vcc
	v_lshl_or_b32 v6, v6, 9, v0
	v_cmp_eq_u32_e32 vcc, s10, v10
	v_cndmask_b32_e32 v1, v1, v6, vcc
	v_lshrrev_b32_e32 v6, 16, v7
	v_and_or_b32 v1, v6, s11, v1
	v_and_or_b32 v6, v9, s6, v8
	v_cmp_ne_u32_e32 vcc, 0, v6
	v_cndmask_b32_e64 v6, 0, 1, vcc
	v_lshrrev_b32_e32 v7, 8, v9
	v_bfe_u32 v8, v9, 20, 11
	v_and_or_b32 v6, v7, s7, v6
	v_sub_u32_e32 v10, 0x3f1, v8
	v_or_b32_e32 v7, 0x1000, v6
	v_med3_i32 v10, v10, 0, 13
	v_lshrrev_b32_e32 v11, v10, v7
	v_lshlrev_b32_e32 v10, v10, v11
	v_cmp_ne_u32_e32 vcc, v10, v7
	v_cndmask_b32_e64 v7, 0, 1, vcc
	v_add_u32_e32 v8, 0xfffffc10, v8
	v_or_b32_e32 v7, v11, v7
	v_lshl_or_b32 v10, v8, 12, v6
	v_cmp_gt_i32_e32 vcc, 1, v8
	v_cndmask_b32_e32 v7, v10, v7, vcc
	v_and_b32_e32 v10, 7, v7
	v_cmp_lt_i32_e32 vcc, 5, v10
	v_cmp_eq_u32_e64 s[0:1], 3, v10
	v_lshrrev_b32_e32 v10, 16, v3
	v_lshrrev_b32_e32 v7, 2, v7
	s_or_b64 vcc, s[0:1], vcc
	v_mul_f16_sdwa v11, v24, v10 dst_sel:DWORD dst_unused:UNUSED_PAD src0_sel:WORD_1 src1_sel:DWORD
	v_addc_co_u32_e32 v7, vcc, 0, v7, vcc
	v_fma_f16 v11, v24, v3, v11
	v_cmp_gt_i32_e32 vcc, 31, v8
	v_cvt_f32_f16_e32 v11, v11
	v_cndmask_b32_e32 v7, v0, v7, vcc
	v_cmp_ne_u32_e32 vcc, 0, v6
	v_cndmask_b32_e64 v6, 0, 1, vcc
	v_lshl_or_b32 v6, v6, 9, v0
	v_cmp_eq_u32_e32 vcc, s10, v8
	v_cndmask_b32_e32 v8, v7, v6, vcc
	v_cvt_f64_f32_e32 v[6:7], v11
	v_lshrrev_b32_e32 v9, 16, v9
	v_and_or_b32 v8, v9, s11, v8
	v_and_b32_e32 v1, 0xffff, v1
	v_mul_f64 v[6:7], v[6:7], s[2:3]
	v_lshl_or_b32 v1, v8, 16, v1
	v_mov_b32_e32 v8, s4
	v_add_co_u32_e32 v4, vcc, s5, v4
	v_addc_co_u32_e32 v5, vcc, v5, v8, vcc
	global_store_dword v[4:5], v1, off
	v_and_or_b32 v1, v7, s6, v6
	v_cmp_ne_u32_e32 vcc, 0, v1
	v_cndmask_b32_e64 v1, 0, 1, vcc
	v_lshrrev_b32_e32 v6, 8, v7
	v_bfe_u32 v8, v7, 20, 11
	v_and_or_b32 v1, v6, s7, v1
	v_sub_u32_e32 v9, 0x3f1, v8
	v_or_b32_e32 v6, 0x1000, v1
	v_med3_i32 v9, v9, 0, 13
	v_lshrrev_b32_e32 v11, v9, v6
	v_lshlrev_b32_e32 v9, v9, v11
	v_cmp_ne_u32_e32 vcc, v9, v6
	v_mul_f16_sdwa v3, v24, v3 dst_sel:DWORD dst_unused:UNUSED_PAD src0_sel:WORD_1 src1_sel:DWORD
	v_cndmask_b32_e64 v6, 0, 1, vcc
	v_fma_f16 v3, v24, v10, -v3
	v_or_b32_e32 v6, v11, v6
	v_add_u32_e32 v11, 0xfffffc10, v8
	v_cvt_f32_f16_e32 v3, v3
	v_lshl_or_b32 v8, v11, 12, v1
	v_cmp_gt_i32_e32 vcc, 1, v11
	v_cndmask_b32_e32 v6, v8, v6, vcc
	v_and_b32_e32 v8, 7, v6
	v_cmp_lt_i32_e32 vcc, 5, v8
	v_cmp_eq_u32_e64 s[0:1], 3, v8
	v_cvt_f64_f32_e32 v[8:9], v3
	v_lshrrev_b32_e32 v6, 2, v6
	s_or_b64 vcc, s[0:1], vcc
	v_addc_co_u32_e32 v3, vcc, 0, v6, vcc
	v_mul_f64 v[8:9], v[8:9], s[2:3]
	v_cmp_gt_i32_e32 vcc, 31, v11
	v_cndmask_b32_e32 v3, v0, v3, vcc
	v_cmp_ne_u32_e32 vcc, 0, v1
	v_cndmask_b32_e64 v1, 0, 1, vcc
	v_lshl_or_b32 v1, v1, 9, v0
	v_cmp_eq_u32_e32 vcc, s10, v11
	v_cndmask_b32_e32 v1, v3, v1, vcc
	v_lshrrev_b32_e32 v3, 16, v7
	v_and_or_b32 v1, v3, s11, v1
	v_and_or_b32 v3, v9, s6, v8
	v_cmp_ne_u32_e32 vcc, 0, v3
	v_cndmask_b32_e64 v3, 0, 1, vcc
	v_lshrrev_b32_e32 v6, 8, v9
	v_bfe_u32 v7, v9, 20, 11
	v_and_or_b32 v3, v6, s7, v3
	v_sub_u32_e32 v8, 0x3f1, v7
	v_or_b32_e32 v6, 0x1000, v3
	v_med3_i32 v8, v8, 0, 13
	v_lshrrev_b32_e32 v10, v8, v6
	v_lshlrev_b32_e32 v8, v8, v10
	v_cmp_ne_u32_e32 vcc, v8, v6
	v_cndmask_b32_e64 v6, 0, 1, vcc
	v_add_u32_e32 v7, 0xfffffc10, v7
	v_or_b32_e32 v6, v10, v6
	v_lshl_or_b32 v8, v7, 12, v3
	v_cmp_gt_i32_e32 vcc, 1, v7
	v_cndmask_b32_e32 v6, v8, v6, vcc
	v_and_b32_e32 v8, 7, v6
	v_cmp_lt_i32_e32 vcc, 5, v8
	v_cmp_eq_u32_e64 s[0:1], 3, v8
	v_lshrrev_b32_e32 v8, 16, v2
	v_lshrrev_b32_e32 v6, 2, v6
	s_or_b64 vcc, s[0:1], vcc
	v_mul_f16_sdwa v10, v23, v8 dst_sel:DWORD dst_unused:UNUSED_PAD src0_sel:WORD_1 src1_sel:DWORD
	v_addc_co_u32_e32 v6, vcc, 0, v6, vcc
	v_fma_f16 v10, v23, v2, v10
	v_cmp_gt_i32_e32 vcc, 31, v7
	v_cvt_f32_f16_e32 v10, v10
	v_cndmask_b32_e32 v6, v0, v6, vcc
	v_cmp_ne_u32_e32 vcc, 0, v3
	v_cndmask_b32_e64 v3, 0, 1, vcc
	v_lshl_or_b32 v3, v3, 9, v0
	v_cmp_eq_u32_e32 vcc, s10, v7
	v_cndmask_b32_e32 v3, v6, v3, vcc
	v_cvt_f64_f32_e32 v[6:7], v10
	v_lshrrev_b32_e32 v9, 16, v9
	v_and_or_b32 v3, v9, s11, v3
	v_and_b32_e32 v1, 0xffff, v1
	v_mul_f64 v[6:7], v[6:7], s[2:3]
	v_lshl_or_b32 v1, v3, 16, v1
	v_mov_b32_e32 v9, s9
	v_add_co_u32_e32 v3, vcc, s8, v4
	v_addc_co_u32_e32 v4, vcc, v5, v9, vcc
	global_store_dword v[3:4], v1, off
	v_and_or_b32 v1, v7, s6, v6
	v_cmp_ne_u32_e32 vcc, 0, v1
	v_cndmask_b32_e64 v1, 0, 1, vcc
	v_lshrrev_b32_e32 v5, 8, v7
	v_bfe_u32 v6, v7, 20, 11
	v_and_or_b32 v5, v5, s7, v1
	v_sub_u32_e32 v9, 0x3f1, v6
	v_or_b32_e32 v1, 0x1000, v5
	v_med3_i32 v9, v9, 0, 13
	v_lshrrev_b32_e32 v10, v9, v1
	v_mul_f16_sdwa v2, v23, v2 dst_sel:DWORD dst_unused:UNUSED_PAD src0_sel:WORD_1 src1_sel:DWORD
	v_lshlrev_b32_e32 v9, v9, v10
	v_fma_f16 v2, v23, v8, -v2
	v_cmp_ne_u32_e32 vcc, v9, v1
	v_cvt_f32_f16_e32 v2, v2
	v_cndmask_b32_e64 v1, 0, 1, vcc
	v_add_u32_e32 v6, 0xfffffc10, v6
	v_or_b32_e32 v1, v10, v1
	v_lshl_or_b32 v9, v6, 12, v5
	v_cmp_gt_i32_e32 vcc, 1, v6
	v_cndmask_b32_e32 v1, v9, v1, vcc
	v_and_b32_e32 v9, 7, v1
	v_lshrrev_b32_e32 v8, 2, v1
	v_cvt_f64_f32_e32 v[1:2], v2
	v_cmp_lt_i32_e32 vcc, 5, v9
	v_cmp_eq_u32_e64 s[0:1], 3, v9
	s_or_b64 vcc, s[0:1], vcc
	v_mul_f64 v[1:2], v[1:2], s[2:3]
	v_addc_co_u32_e32 v8, vcc, 0, v8, vcc
	v_cmp_gt_i32_e32 vcc, 31, v6
	v_cndmask_b32_e32 v8, v0, v8, vcc
	v_cmp_ne_u32_e32 vcc, 0, v5
	v_cndmask_b32_e64 v5, 0, 1, vcc
	v_lshl_or_b32 v5, v5, 9, v0
	v_cmp_eq_u32_e32 vcc, s10, v6
	v_and_or_b32 v1, v2, s6, v1
	v_cndmask_b32_e32 v5, v8, v5, vcc
	v_lshrrev_b32_e32 v6, 16, v7
	v_cmp_ne_u32_e32 vcc, 0, v1
	v_and_or_b32 v5, v6, s11, v5
	v_cndmask_b32_e64 v1, 0, 1, vcc
	v_lshrrev_b32_e32 v6, 8, v2
	v_bfe_u32 v7, v2, 20, 11
	v_and_or_b32 v1, v6, s7, v1
	v_sub_u32_e32 v8, 0x3f1, v7
	v_or_b32_e32 v6, 0x1000, v1
	v_med3_i32 v8, v8, 0, 13
	v_lshrrev_b32_e32 v9, v8, v6
	v_lshlrev_b32_e32 v8, v8, v9
	v_cmp_ne_u32_e32 vcc, v8, v6
	v_cndmask_b32_e64 v6, 0, 1, vcc
	v_add_u32_e32 v7, 0xfffffc10, v7
	v_or_b32_e32 v6, v9, v6
	v_lshl_or_b32 v8, v7, 12, v1
	v_cmp_gt_i32_e32 vcc, 1, v7
	v_cndmask_b32_e32 v6, v8, v6, vcc
	v_and_b32_e32 v8, 7, v6
	v_cmp_lt_i32_e32 vcc, 5, v8
	v_cmp_eq_u32_e64 s[0:1], 3, v8
	v_lshrrev_b32_e32 v6, 2, v6
	s_or_b64 vcc, s[0:1], vcc
	v_addc_co_u32_e32 v6, vcc, 0, v6, vcc
	v_cmp_gt_i32_e32 vcc, 31, v7
	v_cndmask_b32_e32 v6, v0, v6, vcc
	v_cmp_ne_u32_e32 vcc, 0, v1
	v_cndmask_b32_e64 v1, 0, 1, vcc
	v_lshl_or_b32 v0, v1, 9, v0
	v_cmp_eq_u32_e32 vcc, s10, v7
	v_cndmask_b32_e32 v0, v6, v0, vcc
	v_lshrrev_b32_e32 v1, 16, v2
	v_and_or_b32 v0, v1, s11, v0
	v_and_b32_e32 v1, 0xffff, v5
	v_lshl_or_b32 v2, v0, 16, v1
	v_mov_b32_e32 v1, s4
	v_add_co_u32_e32 v0, vcc, s5, v3
	v_addc_co_u32_e32 v1, vcc, v4, v1, vcc
	global_store_dword v[0:1], v2, off
.LBB0_10:
	s_endpgm
	.section	.rodata,"a",@progbits
	.p2align	6, 0x0
	.amdhsa_kernel bluestein_single_fwd_len704_dim1_half_op_CI_CI
		.amdhsa_group_segment_fixed_size 5632
		.amdhsa_private_segment_fixed_size 0
		.amdhsa_kernarg_size 104
		.amdhsa_user_sgpr_count 6
		.amdhsa_user_sgpr_private_segment_buffer 1
		.amdhsa_user_sgpr_dispatch_ptr 0
		.amdhsa_user_sgpr_queue_ptr 0
		.amdhsa_user_sgpr_kernarg_segment_ptr 1
		.amdhsa_user_sgpr_dispatch_id 0
		.amdhsa_user_sgpr_flat_scratch_init 0
		.amdhsa_user_sgpr_private_segment_size 0
		.amdhsa_uses_dynamic_stack 0
		.amdhsa_system_sgpr_private_segment_wavefront_offset 0
		.amdhsa_system_sgpr_workgroup_id_x 1
		.amdhsa_system_sgpr_workgroup_id_y 0
		.amdhsa_system_sgpr_workgroup_id_z 0
		.amdhsa_system_sgpr_workgroup_info 0
		.amdhsa_system_vgpr_workitem_id 0
		.amdhsa_next_free_vgpr 160
		.amdhsa_next_free_sgpr 27
		.amdhsa_reserve_vcc 1
		.amdhsa_reserve_flat_scratch 0
		.amdhsa_float_round_mode_32 0
		.amdhsa_float_round_mode_16_64 0
		.amdhsa_float_denorm_mode_32 3
		.amdhsa_float_denorm_mode_16_64 3
		.amdhsa_dx10_clamp 1
		.amdhsa_ieee_mode 1
		.amdhsa_fp16_overflow 0
		.amdhsa_exception_fp_ieee_invalid_op 0
		.amdhsa_exception_fp_denorm_src 0
		.amdhsa_exception_fp_ieee_div_zero 0
		.amdhsa_exception_fp_ieee_overflow 0
		.amdhsa_exception_fp_ieee_underflow 0
		.amdhsa_exception_fp_ieee_inexact 0
		.amdhsa_exception_int_div_zero 0
	.end_amdhsa_kernel
	.text
.Lfunc_end0:
	.size	bluestein_single_fwd_len704_dim1_half_op_CI_CI, .Lfunc_end0-bluestein_single_fwd_len704_dim1_half_op_CI_CI
                                        ; -- End function
	.section	.AMDGPU.csdata,"",@progbits
; Kernel info:
; codeLenInByte = 15564
; NumSgprs: 31
; NumVgprs: 160
; ScratchSize: 0
; MemoryBound: 0
; FloatMode: 240
; IeeeMode: 1
; LDSByteSize: 5632 bytes/workgroup (compile time only)
; SGPRBlocks: 3
; VGPRBlocks: 39
; NumSGPRsForWavesPerEU: 31
; NumVGPRsForWavesPerEU: 160
; Occupancy: 1
; WaveLimiterHint : 1
; COMPUTE_PGM_RSRC2:SCRATCH_EN: 0
; COMPUTE_PGM_RSRC2:USER_SGPR: 6
; COMPUTE_PGM_RSRC2:TRAP_HANDLER: 0
; COMPUTE_PGM_RSRC2:TGID_X_EN: 1
; COMPUTE_PGM_RSRC2:TGID_Y_EN: 0
; COMPUTE_PGM_RSRC2:TGID_Z_EN: 0
; COMPUTE_PGM_RSRC2:TIDIG_COMP_CNT: 0
	.type	__hip_cuid_e453f2789994bb95,@object ; @__hip_cuid_e453f2789994bb95
	.section	.bss,"aw",@nobits
	.globl	__hip_cuid_e453f2789994bb95
__hip_cuid_e453f2789994bb95:
	.byte	0                               ; 0x0
	.size	__hip_cuid_e453f2789994bb95, 1

	.ident	"AMD clang version 19.0.0git (https://github.com/RadeonOpenCompute/llvm-project roc-6.4.0 25133 c7fe45cf4b819c5991fe208aaa96edf142730f1d)"
	.section	".note.GNU-stack","",@progbits
	.addrsig
	.addrsig_sym __hip_cuid_e453f2789994bb95
	.amdgpu_metadata
---
amdhsa.kernels:
  - .args:
      - .actual_access:  read_only
        .address_space:  global
        .offset:         0
        .size:           8
        .value_kind:     global_buffer
      - .actual_access:  read_only
        .address_space:  global
        .offset:         8
        .size:           8
        .value_kind:     global_buffer
      - .actual_access:  read_only
        .address_space:  global
        .offset:         16
        .size:           8
        .value_kind:     global_buffer
      - .actual_access:  read_only
        .address_space:  global
        .offset:         24
        .size:           8
        .value_kind:     global_buffer
      - .actual_access:  read_only
        .address_space:  global
        .offset:         32
        .size:           8
        .value_kind:     global_buffer
      - .offset:         40
        .size:           8
        .value_kind:     by_value
      - .address_space:  global
        .offset:         48
        .size:           8
        .value_kind:     global_buffer
      - .address_space:  global
        .offset:         56
        .size:           8
        .value_kind:     global_buffer
      - .address_space:  global
        .offset:         64
        .size:           8
        .value_kind:     global_buffer
      - .address_space:  global
        .offset:         72
        .size:           8
        .value_kind:     global_buffer
      - .offset:         80
        .size:           4
        .value_kind:     by_value
      - .address_space:  global
        .offset:         88
        .size:           8
        .value_kind:     global_buffer
      - .address_space:  global
        .offset:         96
        .size:           8
        .value_kind:     global_buffer
    .group_segment_fixed_size: 5632
    .kernarg_segment_align: 8
    .kernarg_segment_size: 104
    .language:       OpenCL C
    .language_version:
      - 2
      - 0
    .max_flat_workgroup_size: 176
    .name:           bluestein_single_fwd_len704_dim1_half_op_CI_CI
    .private_segment_fixed_size: 0
    .sgpr_count:     31
    .sgpr_spill_count: 0
    .symbol:         bluestein_single_fwd_len704_dim1_half_op_CI_CI.kd
    .uniform_work_group_size: 1
    .uses_dynamic_stack: false
    .vgpr_count:     160
    .vgpr_spill_count: 0
    .wavefront_size: 64
amdhsa.target:   amdgcn-amd-amdhsa--gfx906
amdhsa.version:
  - 1
  - 2
...

	.end_amdgpu_metadata
